;; amdgpu-corpus repo=ROCm/rocFFT kind=compiled arch=gfx1030 opt=O3
	.text
	.amdgcn_target "amdgcn-amd-amdhsa--gfx1030"
	.amdhsa_code_object_version 6
	.protected	bluestein_single_back_len600_dim1_half_op_CI_CI ; -- Begin function bluestein_single_back_len600_dim1_half_op_CI_CI
	.globl	bluestein_single_back_len600_dim1_half_op_CI_CI
	.p2align	8
	.type	bluestein_single_back_len600_dim1_half_op_CI_CI,@function
bluestein_single_back_len600_dim1_half_op_CI_CI: ; @bluestein_single_back_len600_dim1_half_op_CI_CI
; %bb.0:
	s_load_dwordx4 s[12:15], s[4:5], 0x28
	v_mul_u32_u24_e32 v1, 0x445, v0
	v_mov_b32_e32 v17, 0
	s_mov_b32 s0, exec_lo
	v_lshrrev_b32_e32 v1, 16, v1
	v_add_nc_u32_e32 v16, s6, v1
	s_waitcnt lgkmcnt(0)
	v_cmpx_gt_u64_e64 s[12:13], v[16:17]
	s_cbranch_execz .LBB0_10
; %bb.1:
	s_clause 0x1
	s_load_dwordx4 s[8:11], s[4:5], 0x18
	s_load_dwordx4 s[0:3], s[4:5], 0x0
	v_mul_lo_u16 v1, v1, 60
	s_load_dwordx2 s[4:5], s[4:5], 0x38
	v_sub_nc_u16 v0, v0, v1
	v_and_b32_e32 v36, 0xffff, v0
	v_lshlrev_b32_e32 v38, 2, v36
	s_waitcnt lgkmcnt(0)
	s_load_dwordx4 s[16:19], s[8:9], 0x0
	v_add_co_u32 v25, s6, s0, v38
	v_add_co_ci_u32_e64 v24, null, s1, 0, s6
	v_add_nc_u32_e32 v21, 0x200, v38
	s_waitcnt lgkmcnt(0)
	v_mad_u64_u32 v[1:2], null, s18, v16, 0
	v_mad_u64_u32 v[3:4], null, s16, v36, 0
	s_mul_i32 s6, s17, 0xf0
	s_mul_hi_u32 s7, s16, 0xf0
	s_mul_i32 s8, s16, 0xf0
	s_add_i32 s7, s7, s6
	v_mad_u64_u32 v[5:6], null, s19, v16, v[2:3]
	v_mad_u64_u32 v[6:7], null, s17, v36, v[4:5]
	v_mov_b32_e32 v2, v5
	v_lshlrev_b64 v[1:2], 2, v[1:2]
	v_mov_b32_e32 v4, v6
	v_add_co_u32 v1, vcc_lo, s14, v1
	v_lshlrev_b64 v[3:4], 2, v[3:4]
	v_add_co_ci_u32_e32 v2, vcc_lo, s15, v2, vcc_lo
	v_add_co_u32 v1, vcc_lo, v1, v3
	v_add_co_ci_u32_e32 v2, vcc_lo, v2, v4, vcc_lo
	v_add_co_u32 v3, vcc_lo, v1, s8
	v_add_co_ci_u32_e32 v4, vcc_lo, s7, v2, vcc_lo
	global_load_dword v7, v[1:2], off
	v_add_co_u32 v1, vcc_lo, v3, s8
	v_add_co_ci_u32_e32 v2, vcc_lo, s7, v4, vcc_lo
	s_clause 0x1
	global_load_dword v40, v38, s[0:1]
	global_load_dword v39, v38, s[0:1] offset:240
	v_add_co_u32 v5, vcc_lo, v1, s8
	v_add_co_ci_u32_e32 v6, vcc_lo, s7, v2, vcc_lo
	s_clause 0x1
	global_load_dword v8, v[3:4], off
	global_load_dword v9, v[1:2], off
	v_add_co_u32 v1, vcc_lo, v5, s8
	v_add_co_ci_u32_e32 v2, vcc_lo, s7, v6, vcc_lo
	s_clause 0x1
	global_load_dword v37, v38, s[0:1] offset:480
	global_load_dword v35, v38, s[0:1] offset:720
	v_add_co_u32 v3, vcc_lo, v1, s8
	v_add_co_ci_u32_e32 v4, vcc_lo, s7, v2, vcc_lo
	s_clause 0x1
	global_load_dword v10, v[5:6], off
	global_load_dword v11, v[1:2], off
	v_add_co_u32 v1, vcc_lo, v3, s8
	v_add_co_ci_u32_e32 v2, vcc_lo, s7, v4, vcc_lo
	s_clause 0x1
	global_load_dword v34, v38, s[0:1] offset:960
	global_load_dword v33, v38, s[0:1] offset:1200
	v_add_co_u32 v5, vcc_lo, v1, s8
	v_add_co_ci_u32_e32 v6, vcc_lo, s7, v2, vcc_lo
	global_load_dword v12, v[3:4], off
	v_add_co_u32 v3, vcc_lo, v5, s8
	v_add_co_ci_u32_e32 v4, vcc_lo, s7, v6, vcc_lo
	global_load_dword v13, v[1:2], off
	s_clause 0x1
	global_load_dword v32, v38, s[0:1] offset:1440
	global_load_dword v31, v38, s[0:1] offset:1680
	global_load_dword v5, v[5:6], off
	global_load_dword v6, v[3:4], off
	v_add_co_u32 v1, vcc_lo, v3, s8
	v_add_co_ci_u32_e32 v2, vcc_lo, s7, v4, vcc_lo
	v_add_co_u32 v17, vcc_lo, 0x800, v25
	v_add_co_ci_u32_e32 v18, vcc_lo, 0, v24, vcc_lo
	global_load_dword v3, v[1:2], off
	s_clause 0x1
	global_load_dword v30, v38, s[0:1] offset:1920
	global_load_dword v29, v[17:18], off offset:112
	v_add_nc_u32_e32 v1, 0x400, v38
	v_add_nc_u32_e32 v2, 0x600, v38
	s_load_dwordx4 s[8:11], s[10:11], 0x0
	v_cmp_gt_u16_e32 vcc_lo, 40, v0
	s_waitcnt vmcnt(19)
	v_lshrrev_b32_e32 v4, 16, v7
	s_waitcnt vmcnt(18)
	v_mul_f16_sdwa v14, v40, v7 dst_sel:DWORD dst_unused:UNUSED_PAD src0_sel:WORD_1 src1_sel:DWORD
	v_mul_f16_sdwa v15, v40, v4 dst_sel:DWORD dst_unused:UNUSED_PAD src0_sel:WORD_1 src1_sel:DWORD
	s_waitcnt vmcnt(16)
	v_lshrrev_b32_e32 v19, 16, v8
	v_mul_f16_sdwa v20, v39, v8 dst_sel:DWORD dst_unused:UNUSED_PAD src0_sel:WORD_1 src1_sel:DWORD
	v_fma_f16 v4, v40, v4, -v14
	v_fmac_f16_e32 v15, v40, v7
	s_waitcnt vmcnt(15)
	v_lshrrev_b32_e32 v14, 16, v9
	v_mul_f16_sdwa v7, v39, v19 dst_sel:DWORD dst_unused:UNUSED_PAD src0_sel:WORD_1 src1_sel:DWORD
	v_fma_f16 v19, v39, v19, -v20
	s_waitcnt vmcnt(14)
	v_mul_f16_sdwa v20, v37, v9 dst_sel:DWORD dst_unused:UNUSED_PAD src0_sel:WORD_1 src1_sel:DWORD
	v_pack_b32_f16 v4, v15, v4
	v_fmac_f16_e32 v7, v39, v8
	v_mul_f16_sdwa v8, v37, v14 dst_sel:DWORD dst_unused:UNUSED_PAD src0_sel:WORD_1 src1_sel:DWORD
	s_waitcnt vmcnt(12)
	v_lshrrev_b32_e32 v15, 16, v10
	v_fma_f16 v14, v37, v14, -v20
	v_mul_f16_sdwa v20, v35, v10 dst_sel:DWORD dst_unused:UNUSED_PAD src0_sel:WORD_1 src1_sel:DWORD
	v_pack_b32_f16 v7, v7, v19
	v_fmac_f16_e32 v8, v37, v9
	v_mul_f16_sdwa v9, v35, v15 dst_sel:DWORD dst_unused:UNUSED_PAD src0_sel:WORD_1 src1_sel:DWORD
	s_waitcnt vmcnt(11)
	v_lshrrev_b32_e32 v19, 16, v11
	s_waitcnt vmcnt(10)
	v_mul_f16_sdwa v22, v34, v11 dst_sel:DWORD dst_unused:UNUSED_PAD src0_sel:WORD_1 src1_sel:DWORD
	v_fma_f16 v15, v35, v15, -v20
	v_pack_b32_f16 v8, v8, v14
	v_fmac_f16_e32 v9, v35, v10
	v_mul_f16_sdwa v10, v34, v19 dst_sel:DWORD dst_unused:UNUSED_PAD src0_sel:WORD_1 src1_sel:DWORD
	v_fma_f16 v14, v34, v19, -v22
	s_waitcnt vmcnt(8)
	v_lshrrev_b32_e32 v19, 16, v12
	v_mul_f16_sdwa v20, v33, v12 dst_sel:DWORD dst_unused:UNUSED_PAD src0_sel:WORD_1 src1_sel:DWORD
	v_pack_b32_f16 v9, v9, v15
	v_fmac_f16_e32 v10, v34, v11
	s_waitcnt vmcnt(7)
	v_lshrrev_b32_e32 v11, 16, v13
	v_mul_f16_sdwa v15, v33, v19 dst_sel:DWORD dst_unused:UNUSED_PAD src0_sel:WORD_1 src1_sel:DWORD
	v_fma_f16 v19, v33, v19, -v20
	s_waitcnt vmcnt(6)
	v_mul_f16_sdwa v20, v32, v13 dst_sel:DWORD dst_unused:UNUSED_PAD src0_sel:WORD_1 src1_sel:DWORD
	v_pack_b32_f16 v10, v10, v14
	v_mul_f16_sdwa v14, v32, v11 dst_sel:DWORD dst_unused:UNUSED_PAD src0_sel:WORD_1 src1_sel:DWORD
	v_fmac_f16_e32 v15, v33, v12
	s_waitcnt vmcnt(4)
	v_lshrrev_b32_e32 v12, 16, v5
	v_fma_f16 v11, v32, v11, -v20
	v_mul_f16_sdwa v20, v31, v5 dst_sel:DWORD dst_unused:UNUSED_PAD src0_sel:WORD_1 src1_sel:DWORD
	v_fmac_f16_e32 v14, v32, v13
	s_waitcnt vmcnt(3)
	v_lshrrev_b32_e32 v13, 16, v6
	s_waitcnt vmcnt(2)
	v_lshrrev_b32_e32 v23, 16, v3
	v_mul_f16_sdwa v22, v31, v12 dst_sel:DWORD dst_unused:UNUSED_PAD src0_sel:WORD_1 src1_sel:DWORD
	v_fma_f16 v12, v31, v12, -v20
	s_waitcnt vmcnt(1)
	v_mul_f16_sdwa v20, v30, v6 dst_sel:DWORD dst_unused:UNUSED_PAD src0_sel:WORD_1 src1_sel:DWORD
	v_mul_f16_sdwa v26, v30, v13 dst_sel:DWORD dst_unused:UNUSED_PAD src0_sel:WORD_1 src1_sel:DWORD
	s_waitcnt vmcnt(0)
	v_mul_f16_sdwa v27, v29, v3 dst_sel:DWORD dst_unused:UNUSED_PAD src0_sel:WORD_1 src1_sel:DWORD
	v_mul_f16_sdwa v28, v29, v23 dst_sel:DWORD dst_unused:UNUSED_PAD src0_sel:WORD_1 src1_sel:DWORD
	v_fmac_f16_e32 v22, v31, v5
	v_fma_f16 v5, v30, v13, -v20
	v_fmac_f16_e32 v26, v30, v6
	v_fma_f16 v6, v29, v23, -v27
	v_fmac_f16_e32 v28, v29, v3
	v_pack_b32_f16 v3, v15, v19
	v_pack_b32_f16 v11, v14, v11
	;; [unrolled: 1-line block ×5, first 2 shown]
	ds_write2_b32 v38, v4, v7 offset1:60
	ds_write2_b32 v38, v8, v9 offset0:120 offset1:180
	ds_write2_b32 v21, v10, v3 offset0:112 offset1:172
	;; [unrolled: 1-line block ×4, first 2 shown]
	s_waitcnt lgkmcnt(0)
	s_barrier
	buffer_gl0_inv
	ds_read2_b32 v[3:4], v38 offset0:120 offset1:180
	ds_read2_b32 v[5:6], v21 offset0:112 offset1:172
	;; [unrolled: 1-line block ×4, first 2 shown]
	ds_read2_b32 v[11:12], v38 offset1:60
	v_mov_b32_e32 v13, 2
	v_mul_lo_u16 v14, v0, 10
	s_waitcnt lgkmcnt(0)
	s_barrier
	buffer_gl0_inv
	v_lshlrev_b32_sdwa v23, v13, v14 dst_sel:DWORD dst_unused:UNUSED_PAD src0_sel:DWORD src1_sel:WORD_0
	v_sub_f16_e32 v20, v3, v5
	v_add_f16_e32 v13, v5, v7
	v_sub_f16_e32 v19, v9, v7
	v_add_f16_e32 v22, v3, v9
	v_sub_f16_e32 v26, v7, v9
	v_sub_f16_e32 v27, v5, v3
	v_sub_f16_sdwa v45, v3, v5 dst_sel:DWORD dst_unused:UNUSED_PAD src0_sel:WORD_1 src1_sel:WORD_1
	v_sub_f16_sdwa v46, v9, v7 dst_sel:DWORD dst_unused:UNUSED_PAD src0_sel:WORD_1 src1_sel:WORD_1
	v_add_f16_e32 v49, v6, v8
	v_add_f16_e32 v53, v4, v10
	v_lshrrev_b32_e32 v56, 16, v12
	v_add_f16_sdwa v59, v4, v10 dst_sel:DWORD dst_unused:UNUSED_PAD src0_sel:WORD_1 src1_sel:WORD_1
	v_add_f16_sdwa v62, v6, v8 dst_sel:DWORD dst_unused:UNUSED_PAD src0_sel:WORD_1 src1_sel:WORD_1
	v_pk_add_f16 v55, v12, v4
	v_pk_add_f16 v28, v11, v3
	v_add_f16_sdwa v41, v5, v7 dst_sel:DWORD dst_unused:UNUSED_PAD src0_sel:WORD_1 src1_sel:WORD_1
	v_lshrrev_b32_e32 v42, 16, v11
	v_add_f16_sdwa v47, v3, v9 dst_sel:DWORD dst_unused:UNUSED_PAD src0_sel:WORD_1 src1_sel:WORD_1
	v_sub_f16_sdwa v50, v4, v10 dst_sel:DWORD dst_unused:UNUSED_PAD src0_sel:WORD_1 src1_sel:WORD_1
	v_sub_f16_sdwa v51, v6, v8 dst_sel:DWORD dst_unused:UNUSED_PAD src0_sel:WORD_1 src1_sel:WORD_1
	v_sub_f16_e32 v52, v4, v6
	v_sub_f16_e32 v54, v6, v4
	;; [unrolled: 1-line block ×5, first 2 shown]
	v_fma_f16 v13, -0.5, v13, v11
	v_fma_f16 v11, -0.5, v22, v11
	;; [unrolled: 1-line block ×4, first 2 shown]
	v_add_f16_e32 v19, v20, v19
	v_add_f16_e32 v20, v27, v26
	;; [unrolled: 1-line block ×3, first 2 shown]
	v_fma_f16 v45, -0.5, v62, v56
	v_fmac_f16_e32 v56, -0.5, v59
	v_sub_f16_e32 v57, v4, v10
	v_sub_f16_sdwa v58, v4, v6 dst_sel:DWORD dst_unused:UNUSED_PAD src0_sel:WORD_1 src1_sel:WORD_1
	v_sub_f16_sdwa v4, v6, v4 dst_sel:DWORD dst_unused:UNUSED_PAD src0_sel:WORD_1 src1_sel:WORD_1
	v_pk_add_f16 v6, v55, v6
	v_sub_f16_sdwa v14, v3, v9 dst_sel:DWORD dst_unused:UNUSED_PAD src0_sel:WORD_1 src1_sel:WORD_1
	v_sub_f16_sdwa v15, v5, v7 dst_sel:DWORD dst_unused:UNUSED_PAD src0_sel:WORD_1 src1_sel:WORD_1
	v_sub_f16_e32 v43, v3, v9
	v_sub_f16_e32 v44, v5, v7
	v_sub_f16_sdwa v3, v5, v3 dst_sel:DWORD dst_unused:UNUSED_PAD src0_sel:WORD_1 src1_sel:WORD_1
	v_sub_f16_sdwa v65, v8, v10 dst_sel:DWORD dst_unused:UNUSED_PAD src0_sel:WORD_1 src1_sel:WORD_1
	v_fma_f16 v41, -0.5, v41, v42
	v_fmac_f16_e32 v42, -0.5, v47
	v_pk_add_f16 v5, v28, v5
	v_add_f16_e32 v27, v52, v60
	v_add_f16_e32 v28, v54, v61
	v_fmamk_f16 v52, v50, 0x3b9c, v22
	v_fmamk_f16 v53, v51, 0xbb9c, v12
	v_fmac_f16_e32 v12, 0x3b9c, v51
	v_fmamk_f16 v54, v63, 0x3b9c, v56
	v_fmac_f16_e32 v56, 0xbb9c, v63
	v_sub_f16_sdwa v48, v7, v9 dst_sel:DWORD dst_unused:UNUSED_PAD src0_sel:WORD_1 src1_sel:WORD_1
	v_sub_f16_sdwa v64, v10, v8 dst_sel:DWORD dst_unused:UNUSED_PAD src0_sel:WORD_1 src1_sel:WORD_1
	v_fmac_f16_e32 v22, 0xbb9c, v50
	v_pk_add_f16 v6, v6, v8
	v_fmamk_f16 v8, v57, 0xbb9c, v45
	v_fmac_f16_e32 v45, 0x3b9c, v57
	v_add_f16_e32 v4, v4, v65
	v_fmamk_f16 v47, v14, 0x3b9c, v13
	v_fmac_f16_e32 v13, 0xbb9c, v14
	v_pk_add_f16 v5, v5, v7
	v_fmamk_f16 v49, v44, 0x3b9c, v42
	v_fmac_f16_e32 v42, 0xbb9c, v44
	v_fmac_f16_e32 v52, 0x38b4, v51
	;; [unrolled: 1-line block ×6, first 2 shown]
	v_add_f16_e32 v3, v3, v48
	v_add_f16_e32 v46, v58, v64
	v_fmamk_f16 v48, v15, 0xbb9c, v11
	v_fmac_f16_e32 v11, 0x3b9c, v15
	v_fmac_f16_e32 v22, 0xb8b4, v51
	;; [unrolled: 1-line block ×3, first 2 shown]
	v_fmamk_f16 v7, v43, 0xbb9c, v41
	v_fmac_f16_e32 v41, 0x3b9c, v43
	v_fmac_f16_e32 v47, 0x38b4, v15
	;; [unrolled: 1-line block ×3, first 2 shown]
	v_pk_add_f16 v5, v5, v9
	v_fmac_f16_e32 v49, 0xb8b4, v43
	v_fmac_f16_e32 v42, 0x38b4, v43
	v_pk_add_f16 v6, v6, v10
	v_fmac_f16_e32 v8, 0xb8b4, v63
	v_fmac_f16_e32 v52, 0x34f2, v27
	;; [unrolled: 1-line block ×17, first 2 shown]
	v_pk_add_f16 v3, v5, v6
	v_pk_add_f16 v6, v5, v6 neg_lo:[0,1] neg_hi:[0,1]
	v_mul_f16_e32 v4, 0x3a79, v52
	v_mul_f16_e32 v5, 0x3b9c, v54
	;; [unrolled: 1-line block ×6, first 2 shown]
	v_fmac_f16_e32 v48, 0x34f2, v20
	v_fmac_f16_e32 v11, 0x34f2, v20
	v_mul_f16_e32 v10, 0x3a79, v22
	v_mul_f16_e32 v20, 0x3a79, v45
	v_fmac_f16_e32 v7, 0x34f2, v26
	v_fmac_f16_e32 v41, 0x34f2, v26
	;; [unrolled: 1-line block ×4, first 2 shown]
	v_fma_f16 v26, v56, 0x3b9c, -v9
	v_fmac_f16_e32 v14, 0x3a79, v8
	v_fmac_f16_e32 v15, 0x34f2, v54
	v_fma_f16 v19, v12, 0xbb9c, -v19
	v_fma_f16 v10, v45, 0x38b4, -v10
	;; [unrolled: 1-line block ×3, first 2 shown]
	v_add_f16_e32 v22, v47, v4
	v_add_f16_e32 v43, v48, v5
	v_add_f16_e32 v44, v11, v26
	v_add_f16_e32 v50, v7, v14
	v_add_f16_e32 v51, v49, v15
	v_add_f16_e32 v52, v42, v19
	v_add_f16_e32 v46, v13, v10
	v_add_f16_e32 v53, v41, v20
	v_sub_f16_e32 v8, v47, v4
	v_sub_f16_e32 v9, v48, v5
	;; [unrolled: 1-line block ×8, first 2 shown]
	v_pack_b32_f16 v4, v22, v50
	v_pack_b32_f16 v11, v44, v52
	;; [unrolled: 1-line block ×8, first 2 shown]
	ds_write2_b64 v23, v[3:4], v[10:11] offset1:1
	ds_write2_b64 v23, v[5:6], v[14:15] offset0:2 offset1:3
	ds_write_b64 v23, v[19:20] offset:32
	s_waitcnt lgkmcnt(0)
	s_barrier
	buffer_gl0_inv
	ds_read2_b32 v[10:11], v38 offset1:100
	ds_read2_b32 v[19:20], v21 offset0:72 offset1:172
	ds_read2_b32 v[14:15], v1 offset0:144 offset1:244
                                        ; implicit-def: $vgpr21
                                        ; implicit-def: $vgpr47
                                        ; implicit-def: $vgpr48
	s_and_saveexec_b32 s0, vcc_lo
	s_cbranch_execz .LBB0_3
; %bb.2:
	ds_read2_b32 v[8:9], v38 offset0:60 offset1:160
	ds_read2_b32 v[12:13], v1 offset0:4 offset1:104
	;; [unrolled: 1-line block ×3, first 2 shown]
	s_waitcnt lgkmcnt(2)
	v_lshrrev_b32_e32 v26, 16, v8
	v_lshrrev_b32_e32 v27, 16, v9
	s_waitcnt lgkmcnt(1)
	v_lshrrev_b32_e32 v28, 16, v12
	v_lshrrev_b32_e32 v45, 16, v13
	;; [unrolled: 3-line block ×3, first 2 shown]
.LBB0_3:
	s_or_b32 exec_lo, exec_lo, s0
	v_and_b32_e32 v0, 0xff, v36
	v_add_nc_u16 v2, v36, 60
	s_waitcnt lgkmcnt(1)
	v_lshrrev_b32_e32 v52, 16, v19
	v_lshrrev_b32_e32 v53, 16, v20
	s_waitcnt lgkmcnt(0)
	v_lshrrev_b32_e32 v54, 16, v14
	v_mul_lo_u16 v0, 0xcd, v0
	v_and_b32_e32 v1, 0xff, v2
	v_lshrrev_b32_e32 v55, 16, v15
	v_lshrrev_b32_e32 v57, 16, v10
	v_lshrrev_b16 v46, 11, v0
	v_mul_lo_u16 v1, 0xcd, v1
	v_mul_lo_u16 v0, v46, 10
	v_lshrrev_b16 v41, 11, v1
	v_sub_nc_u16 v0, v36, v0
	v_mul_lo_u16 v3, v41, 10
	v_and_b32_e32 v51, 0xff, v0
	v_sub_nc_u16 v2, v2, v3
	v_mad_u64_u32 v[0:1], null, v51, 20, s[2:3]
	v_and_b32_e32 v42, 0xff, v2
	v_mad_u64_u32 v[49:50], null, v42, 20, s[2:3]
	s_clause 0x3
	global_load_dwordx4 v[4:7], v[0:1], off
	global_load_dword v44, v[0:1], off offset:16
	global_load_dwordx4 v[0:3], v[49:50], off
	global_load_dword v43, v[49:50], off offset:16
	v_mov_b32_e32 v49, 60
	v_lshrrev_b32_e32 v50, 16, v11
	s_waitcnt vmcnt(0)
	s_barrier
	buffer_gl0_inv
	v_mul_u32_u24_sdwa v46, v46, v49 dst_sel:DWORD dst_unused:UNUSED_PAD src0_sel:WORD_0 src1_sel:DWORD
	v_add_lshl_u32 v46, v46, v51, 2
	v_mul_f16_sdwa v51, v50, v4 dst_sel:DWORD dst_unused:UNUSED_PAD src0_sel:DWORD src1_sel:WORD_1
	v_mul_f16_sdwa v56, v11, v4 dst_sel:DWORD dst_unused:UNUSED_PAD src0_sel:DWORD src1_sel:WORD_1
	;; [unrolled: 1-line block ×10, first 2 shown]
	v_fma_f16 v66, v11, v4, -v51
	v_fmac_f16_e32 v56, v50, v4
	v_fma_f16 v19, v19, v5, -v58
	v_fmac_f16_e32 v59, v52, v5
	;; [unrolled: 2-line block ×5, first 2 shown]
	v_mul_f16_sdwa v11, v9, v0 dst_sel:DWORD dst_unused:UNUSED_PAD src0_sel:DWORD src1_sel:WORD_1
	v_mul_f16_sdwa v55, v28, v1 dst_sel:DWORD dst_unused:UNUSED_PAD src0_sel:DWORD src1_sel:WORD_1
	;; [unrolled: 1-line block ×10, first 2 shown]
	v_fmac_f16_e32 v11, v27, v0
	v_fma_f16 v27, v12, v1, -v55
	v_fmac_f16_e32 v50, v28, v1
	v_fma_f16 v28, v13, v2, -v58
	v_fmac_f16_e32 v51, v45, v2
	v_fma_f16 v12, v21, v3, -v60
	v_fmac_f16_e32 v14, v47, v3
	v_fma_f16 v13, v22, v43, -v62
	v_fmac_f16_e32 v15, v48, v43
	v_sub_f16_e32 v45, v59, v63
	v_add_f16_e32 v47, v57, v59
	v_add_f16_e32 v48, v59, v63
	;; [unrolled: 1-line block ×5, first 2 shown]
	v_fma_f16 v9, v9, v0, -v54
	v_add_f16_e32 v21, v10, v19
	v_add_f16_e32 v22, v19, v52
	v_sub_f16_e32 v19, v19, v52
	v_add_f16_e32 v54, v66, v20
	v_sub_f16_e32 v58, v61, v65
	v_sub_f16_e32 v20, v20, v53
	v_fmac_f16_e32 v57, -0.5, v48
	v_fmac_f16_e32 v66, -0.5, v55
	v_add_f16_e32 v48, v59, v65
	v_fmac_f16_e32 v56, -0.5, v60
	v_add_f16_e32 v59, v28, v13
	v_add_f16_e32 v61, v51, v15
	;; [unrolled: 1-line block ×3, first 2 shown]
	v_fmac_f16_e32 v10, -0.5, v22
	v_add_f16_e32 v22, v47, v63
	v_add_f16_e32 v47, v54, v53
	;; [unrolled: 1-line block ×4, first 2 shown]
	v_sub_f16_e32 v60, v51, v15
	v_sub_f16_e32 v62, v28, v13
	v_fmamk_f16 v64, v19, 0xbaee, v57
	v_fmac_f16_e32 v57, 0x3aee, v19
	v_fmamk_f16 v19, v58, 0x3aee, v66
	v_fmac_f16_e32 v66, 0xbaee, v58
	v_fmamk_f16 v58, v20, 0xbaee, v56
	v_fma_f16 v59, -0.5, v59, v9
	v_fma_f16 v61, -0.5, v61, v11
	v_fmac_f16_e32 v56, 0x3aee, v20
	v_sub_f16_e32 v53, v50, v14
	v_sub_f16_e32 v55, v27, v12
	v_fmamk_f16 v63, v45, 0x3aee, v10
	v_fmac_f16_e32 v10, 0xbaee, v45
	v_add_f16_e32 v20, v21, v47
	v_sub_f16_e32 v47, v21, v47
	v_fma_f16 v21, -0.5, v52, v8
	v_fma_f16 v45, -0.5, v54, v26
	v_mul_f16_e32 v67, 0x3aee, v58
	v_mul_f16_e32 v68, -0.5, v66
	v_mul_f16_e32 v69, 0xbaee, v19
	v_fmamk_f16 v71, v60, 0x3aee, v59
	v_fmac_f16_e32 v59, 0xbaee, v60
	v_fmamk_f16 v60, v62, 0xbaee, v61
	v_fmac_f16_e32 v61, 0x3aee, v62
	v_mul_f16_e32 v70, -0.5, v56
	v_add_f16_e32 v65, v22, v48
	v_sub_f16_e32 v48, v22, v48
	v_fmamk_f16 v22, v53, 0x3aee, v21
	v_fmac_f16_e32 v21, 0xbaee, v53
	v_fmamk_f16 v52, v55, 0xbaee, v45
	v_fmac_f16_e32 v45, 0x3aee, v55
	v_fmac_f16_e32 v67, 0.5, v19
	v_fmac_f16_e32 v68, 0x3aee, v56
	v_fmac_f16_e32 v69, 0.5, v58
	v_mul_f16_e32 v53, 0x3aee, v60
	v_mul_f16_e32 v54, -0.5, v59
	v_mul_f16_e32 v55, 0xbaee, v71
	v_mul_f16_e32 v56, -0.5, v61
	v_fmac_f16_e32 v70, 0xbaee, v66
	v_pack_b32_f16 v62, v20, v65
	v_pack_b32_f16 v65, v47, v48
	v_add_f16_e32 v48, v63, v67
	v_add_f16_e32 v66, v64, v69
	v_fmac_f16_e32 v53, 0.5, v71
	v_fmac_f16_e32 v54, 0x3aee, v61
	v_fmac_f16_e32 v55, 0.5, v60
	v_fmac_f16_e32 v56, 0xbaee, v59
	v_add_f16_e32 v58, v10, v68
	v_add_f16_e32 v72, v57, v70
	v_sub_f16_e32 v63, v63, v67
	v_sub_f16_e32 v10, v10, v68
	;; [unrolled: 1-line block ×7, first 2 shown]
	v_pack_b32_f16 v59, v48, v66
	v_sub_f16_e32 v48, v45, v56
	v_pack_b32_f16 v58, v58, v72
	v_pack_b32_f16 v60, v63, v64
	v_pack_b32_f16 v10, v10, v57
	ds_write2_b32 v46, v62, v59 offset1:10
	ds_write2_b32 v46, v58, v65 offset0:20 offset1:30
	ds_write2_b32 v46, v60, v10 offset0:40 offset1:50
	s_and_saveexec_b32 s0, vcc_lo
	s_cbranch_execz .LBB0_5
; %bb.4:
	v_add_f16_e32 v10, v26, v50
	v_add_f16_e32 v11, v11, v51
	;; [unrolled: 1-line block ×11, first 2 shown]
	v_sub_f16_e32 v13, v10, v11
	v_add_f16_e32 v10, v10, v11
	v_mul_u32_u24_sdwa v11, v41, v49 dst_sel:DWORD dst_unused:UNUSED_PAD src0_sel:WORD_0 src1_sel:DWORD
	v_add_f16_e32 v15, v8, v9
	v_add_f16_e32 v21, v21, v54
	v_sub_f16_e32 v8, v8, v9
	v_add_lshl_u32 v9, v11, v42, 2
	v_pack_b32_f16 v10, v15, v10
	v_pack_b32_f16 v11, v22, v12
	;; [unrolled: 1-line block ×4, first 2 shown]
	v_perm_b32 v13, v47, v19, 0x5040100
	v_perm_b32 v14, v48, v20, 0x5040100
	ds_write2_b32 v9, v10, v11 offset1:10
	ds_write2_b32 v9, v12, v8 offset0:20 offset1:30
	ds_write2_b32 v9, v13, v14 offset0:40 offset1:50
.LBB0_5:
	s_or_b32 exec_lo, exec_lo, s0
	v_mad_u64_u32 v[21:22], null, v36, 36, s[2:3]
	s_waitcnt lgkmcnt(0)
	s_barrier
	buffer_gl0_inv
	v_add_nc_u32_e32 v26, 0x200, v38
	v_add_nc_u32_e32 v50, 0x400, v38
	;; [unrolled: 1-line block ×3, first 2 shown]
	s_clause 0x2
	global_load_dwordx4 v[12:15], v[21:22], off offset:200
	global_load_dwordx4 v[8:11], v[21:22], off offset:216
	global_load_dword v45, v[21:22], off offset:232
	ds_read2_b32 v[21:22], v38 offset1:60
	ds_read2_b32 v[27:28], v38 offset0:120 offset1:180
	ds_read2_b32 v[51:52], v26 offset0:112 offset1:172
	;; [unrolled: 1-line block ×4, first 2 shown]
	v_add_co_u32 v57, s0, 0x960, v25
	v_add_co_ci_u32_e64 v58, s0, 0, v24, s0
	s_waitcnt lgkmcnt(2)
	v_lshrrev_b32_e32 v63, 16, v51
	v_lshrrev_b32_e32 v60, 16, v22
	;; [unrolled: 1-line block ×5, first 2 shown]
	s_waitcnt lgkmcnt(1)
	v_lshrrev_b32_e32 v65, 16, v53
	v_lshrrev_b32_e32 v66, 16, v54
	s_waitcnt lgkmcnt(0)
	v_lshrrev_b32_e32 v67, 16, v55
	v_lshrrev_b32_e32 v68, 16, v56
	;; [unrolled: 1-line block ×3, first 2 shown]
	s_waitcnt vmcnt(2)
	v_mul_f16_sdwa v69, v60, v12 dst_sel:DWORD dst_unused:UNUSED_PAD src0_sel:DWORD src1_sel:WORD_1
	v_mul_f16_sdwa v70, v22, v12 dst_sel:DWORD dst_unused:UNUSED_PAD src0_sel:DWORD src1_sel:WORD_1
	;; [unrolled: 1-line block ×8, first 2 shown]
	s_waitcnt vmcnt(1)
	v_mul_f16_sdwa v77, v64, v8 dst_sel:DWORD dst_unused:UNUSED_PAD src0_sel:DWORD src1_sel:WORD_1
	v_mul_f16_sdwa v78, v52, v8 dst_sel:DWORD dst_unused:UNUSED_PAD src0_sel:DWORD src1_sel:WORD_1
	;; [unrolled: 1-line block ×8, first 2 shown]
	s_waitcnt vmcnt(0)
	v_mul_f16_sdwa v85, v68, v45 dst_sel:DWORD dst_unused:UNUSED_PAD src0_sel:DWORD src1_sel:WORD_1
	v_mul_f16_sdwa v86, v56, v45 dst_sel:DWORD dst_unused:UNUSED_PAD src0_sel:DWORD src1_sel:WORD_1
	v_fma_f16 v22, v22, v12, -v69
	v_fmac_f16_e32 v70, v60, v12
	v_fma_f16 v27, v27, v13, -v71
	v_fmac_f16_e32 v72, v61, v13
	;; [unrolled: 2-line block ×9, first 2 shown]
	v_add_f16_e32 v60, v21, v27
	v_add_f16_e32 v61, v51, v53
	v_sub_f16_e32 v64, v27, v51
	v_sub_f16_e32 v65, v55, v53
	;; [unrolled: 1-line block ×4, first 2 shown]
	v_add_f16_e32 v69, v59, v72
	v_sub_f16_e32 v75, v72, v76
	v_sub_f16_e32 v77, v84, v80
	v_add_f16_e32 v83, v22, v28
	v_add_f16_e32 v85, v52, v54
	;; [unrolled: 1-line block ×6, first 2 shown]
	v_sub_f16_e32 v62, v72, v84
	v_sub_f16_e32 v63, v76, v80
	v_add_f16_e32 v66, v27, v55
	v_add_f16_e32 v71, v76, v80
	v_sub_f16_e32 v73, v51, v53
	v_add_f16_e32 v79, v72, v84
	v_sub_f16_e32 v72, v76, v72
	v_sub_f16_e32 v87, v74, v86
	;; [unrolled: 1-line block ×6, first 2 shown]
	v_add_f16_e32 v51, v60, v51
	v_fma_f16 v60, -0.5, v61, v21
	v_add_f16_e32 v61, v64, v65
	v_add_f16_e32 v64, v67, v68
	;; [unrolled: 1-line block ×5, first 2 shown]
	v_fma_f16 v69, -0.5, v85, v22
	v_add_f16_e32 v75, v94, v78
	v_fma_f16 v76, -0.5, v95, v70
	v_sub_f16_e32 v81, v80, v84
	v_sub_f16_e32 v88, v78, v82
	v_fmac_f16_e32 v22, -0.5, v91
	v_fmac_f16_e32 v70, -0.5, v99
	v_sub_f16_e32 v90, v56, v54
	v_sub_f16_e32 v93, v54, v56
	;; [unrolled: 1-line block ×5, first 2 shown]
	v_fmac_f16_e32 v21, -0.5, v66
	v_fma_f16 v66, -0.5, v71, v59
	v_fmac_f16_e32 v59, -0.5, v79
	v_add_f16_e32 v52, v52, v54
	v_fmamk_f16 v54, v87, 0x3b9c, v69
	v_add_f16_e32 v75, v75, v82
	v_fmamk_f16 v82, v28, 0xbb9c, v76
	v_sub_f16_e32 v74, v78, v74
	v_add_f16_e32 v68, v72, v81
	v_fmamk_f16 v81, v88, 0xbb9c, v22
	v_fmac_f16_e32 v22, 0x3b9c, v88
	v_fmamk_f16 v83, v96, 0x3b9c, v70
	v_fmac_f16_e32 v70, 0xbb9c, v96
	v_sub_f16_e32 v27, v27, v55
	v_fmac_f16_e32 v69, 0xbb9c, v87
	v_fmac_f16_e32 v76, 0x3b9c, v28
	v_add_f16_e32 v71, v89, v90
	v_add_f16_e32 v77, v97, v98
	;; [unrolled: 1-line block ×4, first 2 shown]
	v_fmamk_f16 v80, v73, 0x3b9c, v59
	v_fmac_f16_e32 v59, 0xbb9c, v73
	v_fmac_f16_e32 v54, 0x38b4, v88
	;; [unrolled: 1-line block ×3, first 2 shown]
	v_add_f16_e32 v72, v92, v93
	v_add_f16_e32 v74, v74, v100
	v_fmamk_f16 v53, v62, 0x3b9c, v60
	v_fmac_f16_e32 v60, 0xbb9c, v62
	v_fmamk_f16 v78, v63, 0xbb9c, v21
	v_fmac_f16_e32 v21, 0x3b9c, v63
	v_fmac_f16_e32 v81, 0x38b4, v87
	;; [unrolled: 1-line block ×5, first 2 shown]
	v_fmamk_f16 v79, v27, 0xbb9c, v66
	v_fmac_f16_e32 v66, 0x3b9c, v27
	v_fmac_f16_e32 v69, 0xb8b4, v88
	;; [unrolled: 1-line block ×3, first 2 shown]
	v_add_f16_e32 v51, v51, v55
	v_add_f16_e32 v55, v65, v84
	v_fmac_f16_e32 v80, 0xb8b4, v27
	v_fmac_f16_e32 v59, 0x38b4, v27
	v_add_f16_e32 v27, v52, v56
	v_add_f16_e32 v52, v75, v86
	v_fmac_f16_e32 v54, 0x34f2, v71
	v_fmac_f16_e32 v82, 0x34f2, v77
	;; [unrolled: 1-line block ×14, first 2 shown]
	v_add_f16_e32 v28, v51, v27
	v_add_f16_e32 v56, v55, v52
	v_sub_f16_e32 v27, v51, v27
	v_sub_f16_e32 v51, v55, v52
	v_mul_f16_e32 v52, 0x38b4, v82
	v_mul_f16_e32 v63, 0xb8b4, v54
	v_fmac_f16_e32 v53, 0x34f2, v61
	v_fmac_f16_e32 v60, 0x34f2, v61
	;; [unrolled: 1-line block ×4, first 2 shown]
	v_mul_f16_e32 v55, 0x3b9c, v83
	v_mul_f16_e32 v61, 0xb4f2, v22
	;; [unrolled: 1-line block ×4, first 2 shown]
	v_fmac_f16_e32 v79, 0x34f2, v67
	v_fmac_f16_e32 v66, 0x34f2, v67
	v_mul_f16_e32 v62, 0xba79, v69
	v_mul_f16_e32 v67, 0xba79, v76
	v_fmac_f16_e32 v52, 0x3a79, v54
	v_fmac_f16_e32 v63, 0x3a79, v82
	;; [unrolled: 1-line block ×10, first 2 shown]
	v_add_f16_e32 v22, v53, v52
	v_add_f16_e32 v68, v79, v63
	v_pack_b32_f16 v27, v27, v51
	v_add_f16_e32 v51, v78, v55
	v_add_f16_e32 v54, v21, v61
	;; [unrolled: 1-line block ×4, first 2 shown]
	v_pack_b32_f16 v28, v28, v56
	v_add_f16_e32 v56, v60, v62
	v_add_f16_e32 v71, v66, v67
	v_sub_f16_e32 v52, v53, v52
	v_sub_f16_e32 v53, v78, v55
	;; [unrolled: 1-line block ×8, first 2 shown]
	v_pack_b32_f16 v22, v22, v68
	v_pack_b32_f16 v51, v51, v69
	;; [unrolled: 1-line block ×8, first 2 shown]
	ds_write2_b32 v38, v28, v22 offset1:60
	ds_write2_b32 v38, v51, v54 offset0:120 offset1:180
	ds_write2_b32 v26, v56, v27 offset0:112 offset1:172
	;; [unrolled: 1-line block ×4, first 2 shown]
	s_waitcnt lgkmcnt(0)
	s_barrier
	buffer_gl0_inv
	s_clause 0x4
	global_load_dword v21, v[17:18], off offset:352
	global_load_dword v22, v[57:58], off offset:240
	;; [unrolled: 1-line block ×5, first 2 shown]
	v_add_co_u32 v17, s0, 0x1000, v25
	v_add_co_ci_u32_e64 v18, s0, 0, v24, s0
	s_clause 0x4
	global_load_dword v54, v[57:58], off offset:1200
	global_load_dword v55, v[57:58], off offset:1440
	;; [unrolled: 1-line block ×5, first 2 shown]
	ds_read2_b32 v[17:18], v38 offset1:60
	s_waitcnt lgkmcnt(0)
	v_lshrrev_b32_e32 v24, 16, v17
	v_lshrrev_b32_e32 v25, 16, v18
	s_waitcnt vmcnt(9)
	v_mul_f16_sdwa v27, v24, v21 dst_sel:DWORD dst_unused:UNUSED_PAD src0_sel:DWORD src1_sel:WORD_1
	v_mul_f16_sdwa v28, v17, v21 dst_sel:DWORD dst_unused:UNUSED_PAD src0_sel:DWORD src1_sel:WORD_1
	s_waitcnt vmcnt(8)
	v_mul_f16_sdwa v59, v25, v22 dst_sel:DWORD dst_unused:UNUSED_PAD src0_sel:DWORD src1_sel:WORD_1
	v_mul_f16_sdwa v60, v18, v22 dst_sel:DWORD dst_unused:UNUSED_PAD src0_sel:DWORD src1_sel:WORD_1
	v_fma_f16 v17, v17, v21, -v27
	v_fmac_f16_e32 v28, v24, v21
	v_fma_f16 v18, v18, v22, -v59
	v_fmac_f16_e32 v60, v25, v22
	v_pack_b32_f16 v17, v17, v28
	v_pack_b32_f16 v18, v18, v60
	ds_write2_b32 v38, v17, v18 offset1:60
	ds_read2_b32 v[17:18], v38 offset0:120 offset1:180
	ds_read2_b32 v[21:22], v26 offset0:112 offset1:172
	;; [unrolled: 1-line block ×4, first 2 shown]
	s_waitcnt lgkmcnt(3)
	v_lshrrev_b32_e32 v59, 16, v17
	s_waitcnt vmcnt(7)
	v_mul_f16_sdwa v60, v17, v51 dst_sel:DWORD dst_unused:UNUSED_PAD src0_sel:DWORD src1_sel:WORD_1
	v_lshrrev_b32_e32 v61, 16, v18
	s_waitcnt vmcnt(6)
	v_mul_f16_sdwa v62, v18, v52 dst_sel:DWORD dst_unused:UNUSED_PAD src0_sel:DWORD src1_sel:WORD_1
	s_waitcnt lgkmcnt(2)
	v_lshrrev_b32_e32 v63, 16, v21
	s_waitcnt vmcnt(5)
	v_mul_f16_sdwa v64, v21, v53 dst_sel:DWORD dst_unused:UNUSED_PAD src0_sel:DWORD src1_sel:WORD_1
	v_lshrrev_b32_e32 v65, 16, v22
	s_waitcnt vmcnt(4)
	v_mul_f16_sdwa v66, v22, v54 dst_sel:DWORD dst_unused:UNUSED_PAD src0_sel:DWORD src1_sel:WORD_1
	;; [unrolled: 7-line block ×3, first 2 shown]
	s_waitcnt lgkmcnt(0)
	v_lshrrev_b32_e32 v71, 16, v27
	s_waitcnt vmcnt(1)
	v_mul_f16_sdwa v72, v27, v57 dst_sel:DWORD dst_unused:UNUSED_PAD src0_sel:DWORD src1_sel:WORD_1
	v_lshrrev_b32_e32 v73, 16, v28
	v_mul_f16_sdwa v75, v59, v51 dst_sel:DWORD dst_unused:UNUSED_PAD src0_sel:DWORD src1_sel:WORD_1
	v_fmac_f16_e32 v60, v59, v51
	v_mul_f16_sdwa v59, v61, v52 dst_sel:DWORD dst_unused:UNUSED_PAD src0_sel:DWORD src1_sel:WORD_1
	v_fmac_f16_e32 v62, v61, v52
	;; [unrolled: 2-line block ×5, first 2 shown]
	v_mul_f16_sdwa v67, v69, v56 dst_sel:DWORD dst_unused:UNUSED_PAD src0_sel:DWORD src1_sel:WORD_1
	s_waitcnt vmcnt(0)
	v_mul_f16_sdwa v74, v28, v58 dst_sel:DWORD dst_unused:UNUSED_PAD src0_sel:DWORD src1_sel:WORD_1
	v_fmac_f16_e32 v70, v69, v56
	v_mul_f16_sdwa v69, v71, v57 dst_sel:DWORD dst_unused:UNUSED_PAD src0_sel:DWORD src1_sel:WORD_1
	v_fmac_f16_e32 v72, v71, v57
	v_mul_f16_sdwa v71, v73, v58 dst_sel:DWORD dst_unused:UNUSED_PAD src0_sel:DWORD src1_sel:WORD_1
	v_fma_f16 v17, v17, v51, -v75
	v_fma_f16 v18, v18, v52, -v59
	;; [unrolled: 1-line block ×6, first 2 shown]
	v_fmac_f16_e32 v74, v73, v58
	v_fma_f16 v27, v27, v57, -v69
	v_fma_f16 v28, v28, v58, -v71
	v_pack_b32_f16 v17, v17, v60
	v_pack_b32_f16 v18, v18, v62
	;; [unrolled: 1-line block ×8, first 2 shown]
	ds_write2_b32 v38, v17, v18 offset0:120 offset1:180
	ds_write2_b32 v26, v21, v22 offset0:112 offset1:172
	;; [unrolled: 1-line block ×4, first 2 shown]
	s_waitcnt lgkmcnt(0)
	s_barrier
	buffer_gl0_inv
	ds_read2_b32 v[17:18], v38 offset0:120 offset1:180
	ds_read2_b32 v[21:22], v26 offset0:112 offset1:172
	;; [unrolled: 1-line block ×4, first 2 shown]
	ds_read2_b32 v[51:52], v38 offset1:60
	s_waitcnt lgkmcnt(0)
	s_barrier
	buffer_gl0_inv
	v_sub_f16_e32 v57, v17, v21
	v_sub_f16_e32 v60, v21, v17
	;; [unrolled: 1-line block ×4, first 2 shown]
	v_sub_f16_sdwa v66, v17, v21 dst_sel:DWORD dst_unused:UNUSED_PAD src0_sel:WORD_1 src1_sel:WORD_1
	v_sub_f16_sdwa v67, v27, v24 dst_sel:DWORD dst_unused:UNUSED_PAD src0_sel:WORD_1 src1_sel:WORD_1
	v_add_f16_e32 v70, v22, v25
	v_pk_add_f16 v78, v52, v18
	v_add_f16_sdwa v79, v22, v25 dst_sel:DWORD dst_unused:UNUSED_PAD src0_sel:WORD_1 src1_sel:WORD_1
	v_lshrrev_b32_e32 v80, 16, v52
	v_add_f16_sdwa v85, v18, v28 dst_sel:DWORD dst_unused:UNUSED_PAD src0_sel:WORD_1 src1_sel:WORD_1
	v_add_f16_e32 v53, v21, v24
	v_add_f16_e32 v58, v17, v27
	v_pk_add_f16 v61, v51, v17
	v_add_f16_sdwa v62, v21, v24 dst_sel:DWORD dst_unused:UNUSED_PAD src0_sel:WORD_1 src1_sel:WORD_1
	v_lshrrev_b32_e32 v63, 16, v51
	v_add_f16_sdwa v68, v17, v27 dst_sel:DWORD dst_unused:UNUSED_PAD src0_sel:WORD_1 src1_sel:WORD_1
	v_sub_f16_sdwa v71, v18, v28 dst_sel:DWORD dst_unused:UNUSED_PAD src0_sel:WORD_1 src1_sel:WORD_1
	v_sub_f16_sdwa v72, v22, v25 dst_sel:DWORD dst_unused:UNUSED_PAD src0_sel:WORD_1 src1_sel:WORD_1
	v_sub_f16_e32 v73, v28, v25
	v_sub_f16_e32 v74, v18, v22
	v_add_f16_e32 v75, v18, v28
	v_sub_f16_e32 v76, v25, v28
	v_sub_f16_e32 v77, v22, v18
	;; [unrolled: 1-line block ×4, first 2 shown]
	v_sub_f16_sdwa v83, v18, v22 dst_sel:DWORD dst_unused:UNUSED_PAD src0_sel:WORD_1 src1_sel:WORD_1
	v_sub_f16_sdwa v18, v22, v18 dst_sel:DWORD dst_unused:UNUSED_PAD src0_sel:WORD_1 src1_sel:WORD_1
	v_add_f16_e32 v56, v57, v56
	v_add_f16_e32 v57, v60, v59
	;; [unrolled: 1-line block ×3, first 2 shown]
	v_fma_f16 v60, -0.5, v70, v52
	v_pk_add_f16 v22, v78, v22
	v_fma_f16 v66, -0.5, v79, v80
	v_fmac_f16_e32 v80, -0.5, v85
	v_sub_f16_sdwa v54, v17, v27 dst_sel:DWORD dst_unused:UNUSED_PAD src0_sel:WORD_1 src1_sel:WORD_1
	v_sub_f16_sdwa v55, v21, v24 dst_sel:DWORD dst_unused:UNUSED_PAD src0_sel:WORD_1 src1_sel:WORD_1
	v_sub_f16_e32 v64, v17, v27
	v_sub_f16_e32 v65, v21, v24
	v_sub_f16_sdwa v17, v21, v17 dst_sel:DWORD dst_unused:UNUSED_PAD src0_sel:WORD_1 src1_sel:WORD_1
	v_sub_f16_sdwa v84, v28, v25 dst_sel:DWORD dst_unused:UNUSED_PAD src0_sel:WORD_1 src1_sel:WORD_1
	;; [unrolled: 1-line block ×3, first 2 shown]
	v_fma_f16 v53, -0.5, v53, v51
	v_fma_f16 v51, -0.5, v58, v51
	v_pk_add_f16 v21, v61, v21
	v_fma_f16 v58, -0.5, v62, v63
	v_fmac_f16_e32 v63, -0.5, v68
	v_add_f16_e32 v61, v74, v73
	v_fma_f16 v52, -0.5, v75, v52
	v_add_f16_e32 v62, v77, v76
	v_fmamk_f16 v74, v71, 0xbb9c, v60
	v_pk_add_f16 v22, v22, v25
	v_fmamk_f16 v25, v81, 0x3b9c, v66
	v_fmamk_f16 v76, v82, 0xbb9c, v80
	v_fmac_f16_e32 v80, 0x3b9c, v82
	v_fmac_f16_e32 v66, 0xbb9c, v81
	v_sub_f16_sdwa v69, v24, v27 dst_sel:DWORD dst_unused:UNUSED_PAD src0_sel:WORD_1 src1_sel:WORD_1
	v_add_f16_e32 v67, v83, v84
	v_add_f16_e32 v18, v18, v86
	v_pk_add_f16 v21, v21, v24
	v_fmamk_f16 v73, v65, 0xbb9c, v63
	v_fmac_f16_e32 v63, 0x3b9c, v65
	v_fmamk_f16 v75, v72, 0x3b9c, v52
	v_fmac_f16_e32 v52, 0xbb9c, v72
	v_fmac_f16_e32 v74, 0xb8b4, v72
	;; [unrolled: 1-line block ×5, first 2 shown]
	v_fmamk_f16 v68, v54, 0xbb9c, v53
	v_fmac_f16_e32 v53, 0x3b9c, v54
	v_fmac_f16_e32 v60, 0x3b9c, v71
	;; [unrolled: 1-line block ×3, first 2 shown]
	v_add_f16_e32 v17, v17, v69
	v_fmamk_f16 v69, v55, 0x3b9c, v51
	v_fmac_f16_e32 v51, 0xbb9c, v55
	v_fmamk_f16 v70, v64, 0x3b9c, v58
	v_pk_add_f16 v21, v21, v27
	v_fmac_f16_e32 v73, 0x38b4, v64
	v_fmac_f16_e32 v63, 0xb8b4, v64
	;; [unrolled: 1-line block ×4, first 2 shown]
	v_pk_add_f16 v22, v22, v28
	v_fmac_f16_e32 v74, 0x34f2, v61
	v_fmac_f16_e32 v25, 0x34f2, v67
	;; [unrolled: 1-line block ×16, first 2 shown]
	v_pk_add_f16 v24, v21, v22
	v_pk_add_f16 v28, v21, v22 neg_lo:[0,1] neg_hi:[0,1]
	v_mul_f16_e32 v17, 0xb8b4, v25
	v_mul_f16_e32 v18, 0xbb9c, v76
	;; [unrolled: 1-line block ×6, first 2 shown]
	v_fmac_f16_e32 v58, 0xb8b4, v65
	v_fmac_f16_e32 v68, 0x34f2, v56
	;; [unrolled: 1-line block ×4, first 2 shown]
	v_mul_f16_e32 v22, 0xb8b4, v66
	v_mul_f16_e32 v56, 0xba79, v66
	v_fmac_f16_e32 v69, 0x34f2, v57
	v_fmac_f16_e32 v51, 0x34f2, v57
	;; [unrolled: 1-line block ×12, first 2 shown]
	v_add_f16_e32 v25, v68, v17
	v_add_f16_e32 v57, v69, v18
	;; [unrolled: 1-line block ×8, first 2 shown]
	v_sub_f16_e32 v17, v68, v17
	v_sub_f16_e32 v18, v69, v18
	;; [unrolled: 1-line block ×8, first 2 shown]
	v_pack_b32_f16 v56, v59, v64
	v_pack_b32_f16 v55, v57, v62
	;; [unrolled: 1-line block ×8, first 2 shown]
	ds_write2_b64 v23, v[24:25], v[55:56] offset1:1
	ds_write2_b64 v23, v[27:28], v[57:58] offset0:2 offset1:3
	ds_write_b64 v23, v[59:60] offset:32
	s_waitcnt lgkmcnt(0)
	s_barrier
	buffer_gl0_inv
	ds_read2_b32 v[23:24], v38 offset1:100
	ds_read2_b32 v[27:28], v26 offset0:72 offset1:172
	ds_read2_b32 v[25:26], v50 offset0:144 offset1:244
	s_and_saveexec_b32 s0, vcc_lo
	s_cbranch_execz .LBB0_7
; %bb.6:
	ds_read2_b32 v[17:18], v38 offset0:60 offset1:160
	ds_read2_b32 v[21:22], v50 offset0:4 offset1:104
	;; [unrolled: 1-line block ×3, first 2 shown]
	s_waitcnt lgkmcnt(2)
	v_lshrrev_b32_e32 v51, 16, v17
	v_lshrrev_b32_e32 v52, 16, v18
	s_waitcnt lgkmcnt(1)
	v_lshrrev_b32_e32 v53, 16, v21
	v_lshrrev_b32_e32 v54, 16, v22
	;; [unrolled: 3-line block ×3, first 2 shown]
.LBB0_7:
	s_or_b32 exec_lo, exec_lo, s0
	s_waitcnt lgkmcnt(2)
	v_lshrrev_b32_e32 v49, 16, v24
	s_waitcnt lgkmcnt(1)
	v_lshrrev_b32_e32 v55, 16, v27
	v_lshrrev_b32_e32 v56, 16, v28
	s_waitcnt lgkmcnt(0)
	v_lshrrev_b32_e32 v57, 16, v25
	v_mul_f16_sdwa v59, v4, v24 dst_sel:DWORD dst_unused:UNUSED_PAD src0_sel:WORD_1 src1_sel:DWORD
	v_mul_f16_sdwa v58, v4, v49 dst_sel:DWORD dst_unused:UNUSED_PAD src0_sel:WORD_1 src1_sel:DWORD
	;; [unrolled: 1-line block ×4, first 2 shown]
	v_lshrrev_b32_e32 v60, 16, v26
	v_lshrrev_b32_e32 v50, 16, v23
	v_fmac_f16_e32 v58, v4, v24
	v_mul_f16_sdwa v24, v6, v56 dst_sel:DWORD dst_unused:UNUSED_PAD src0_sel:WORD_1 src1_sel:DWORD
	v_fmac_f16_e32 v61, v5, v27
	v_mul_f16_sdwa v27, v7, v57 dst_sel:DWORD dst_unused:UNUSED_PAD src0_sel:WORD_1 src1_sel:DWORD
	v_fma_f16 v4, v4, v49, -v59
	v_mul_f16_sdwa v49, v6, v28 dst_sel:DWORD dst_unused:UNUSED_PAD src0_sel:WORD_1 src1_sel:DWORD
	v_fmac_f16_e32 v24, v6, v28
	v_mul_f16_sdwa v28, v7, v25 dst_sel:DWORD dst_unused:UNUSED_PAD src0_sel:WORD_1 src1_sel:DWORD
	v_fmac_f16_e32 v27, v7, v25
	v_fma_f16 v5, v5, v55, -v62
	v_mul_f16_sdwa v25, v44, v60 dst_sel:DWORD dst_unused:UNUSED_PAD src0_sel:WORD_1 src1_sel:DWORD
	v_fma_f16 v6, v6, v56, -v49
	v_mul_f16_sdwa v49, v44, v26 dst_sel:DWORD dst_unused:UNUSED_PAD src0_sel:WORD_1 src1_sel:DWORD
	v_fma_f16 v7, v7, v57, -v28
	v_add_f16_e32 v28, v61, v27
	v_fmac_f16_e32 v25, v44, v26
	v_add_f16_e32 v26, v23, v61
	v_fma_f16 v44, v44, v60, -v49
	v_add_f16_e32 v49, v5, v7
	v_fmac_f16_e32 v23, -0.5, v28
	v_sub_f16_e32 v28, v5, v7
	v_add_f16_e32 v5, v50, v5
	v_add_f16_e32 v26, v26, v27
	v_fmac_f16_e32 v50, -0.5, v49
	v_sub_f16_e32 v27, v61, v27
	v_fmamk_f16 v49, v28, 0xbaee, v23
	v_fmac_f16_e32 v23, 0x3aee, v28
	v_add_f16_e32 v28, v6, v44
	v_add_f16_e32 v55, v24, v25
	;; [unrolled: 1-line block ×4, first 2 shown]
	v_fmamk_f16 v7, v27, 0x3aee, v50
	v_fmac_f16_e32 v4, -0.5, v28
	v_sub_f16_e32 v28, v24, v25
	v_add_f16_e32 v24, v58, v24
	v_fmac_f16_e32 v58, -0.5, v55
	v_sub_f16_e32 v6, v6, v44
	v_fmac_f16_e32 v50, 0xbaee, v27
	v_fmamk_f16 v27, v28, 0x3aee, v4
	v_fmac_f16_e32 v4, 0xbaee, v28
	v_add_f16_e32 v24, v24, v25
	v_fmamk_f16 v25, v6, 0xbaee, v58
	v_fmac_f16_e32 v58, 0x3aee, v6
	v_mul_f16_e32 v6, 0xbaee, v27
	v_mul_f16_e32 v27, 0.5, v27
	v_mul_f16_e32 v28, 0xbaee, v4
	v_mul_f16_e32 v4, -0.5, v4
	v_add_f16_e32 v44, v56, v44
	v_fmac_f16_e32 v6, 0.5, v25
	v_fmac_f16_e32 v27, 0x3aee, v25
	v_fmac_f16_e32 v28, -0.5, v58
	v_fmac_f16_e32 v4, 0x3aee, v58
	v_add_f16_e32 v55, v26, v24
	v_add_f16_e32 v25, v49, v6
	;; [unrolled: 1-line block ×6, first 2 shown]
	v_sub_f16_e32 v24, v26, v24
	v_sub_f16_e32 v5, v5, v44
	;; [unrolled: 1-line block ×6, first 2 shown]
	v_pack_b32_f16 v26, v55, v57
	v_pack_b32_f16 v25, v25, v58
	;; [unrolled: 1-line block ×6, first 2 shown]
	s_barrier
	buffer_gl0_inv
	ds_write2_b32 v46, v26, v25 offset1:10
	ds_write2_b32 v46, v27, v5 offset0:20 offset1:30
	ds_write2_b32 v46, v6, v4 offset0:40 offset1:50
	s_and_saveexec_b32 s0, vcc_lo
	s_cbranch_execz .LBB0_9
; %bb.8:
	v_mul_f16_sdwa v7, v2, v22 dst_sel:DWORD dst_unused:UNUSED_PAD src0_sel:WORD_1 src1_sel:DWORD
	v_mul_f16_sdwa v23, v43, v20 dst_sel:DWORD dst_unused:UNUSED_PAD src0_sel:WORD_1 src1_sel:DWORD
	;; [unrolled: 1-line block ×7, first 2 shown]
	v_fma_f16 v7, v2, v54, -v7
	v_fma_f16 v23, v43, v48, -v23
	;; [unrolled: 1-line block ×4, first 2 shown]
	v_mul_f16_sdwa v27, v0, v52 dst_sel:DWORD dst_unused:UNUSED_PAD src0_sel:WORD_1 src1_sel:DWORD
	v_fmac_f16_e32 v6, v2, v22
	v_fmac_f16_e32 v24, v43, v20
	v_fma_f16 v2, v0, v52, -v25
	v_add_f16_e32 v20, v7, v23
	v_mul_f16_sdwa v22, v1, v53 dst_sel:DWORD dst_unused:UNUSED_PAD src0_sel:WORD_1 src1_sel:DWORD
	v_mul_f16_sdwa v25, v3, v47 dst_sel:DWORD dst_unused:UNUSED_PAD src0_sel:WORD_1 src1_sel:DWORD
	v_add_f16_e32 v26, v4, v5
	v_fmac_f16_e32 v27, v0, v18
	v_add_f16_e32 v0, v6, v24
	v_fma_f16 v18, -0.5, v20, v2
	v_sub_f16_e32 v20, v6, v24
	v_fmac_f16_e32 v22, v1, v21
	v_fmac_f16_e32 v25, v3, v19
	v_fma_f16 v0, -0.5, v0, v27
	v_sub_f16_e32 v1, v7, v23
	v_fmamk_f16 v3, v20, 0xbaee, v18
	v_fma_f16 v19, -0.5, v26, v51
	v_fmac_f16_e32 v18, 0x3aee, v20
	v_sub_f16_e32 v20, v22, v25
	v_fmamk_f16 v21, v1, 0x3aee, v0
	v_fmac_f16_e32 v0, 0xbaee, v1
	v_add_f16_e32 v46, v51, v4
	v_mul_f16_e32 v1, 0.5, v18
	v_fmamk_f16 v28, v20, 0xbaee, v19
	v_fmac_f16_e32 v19, 0x3aee, v20
	v_add_f16_e32 v20, v22, v25
	v_mul_f16_e32 v18, 0xbaee, v18
	v_fmac_f16_e32 v1, 0x3aee, v0
	v_add_f16_e32 v2, v2, v7
	v_sub_f16_e32 v4, v4, v5
	v_fma_f16 v7, -0.5, v20, v17
	v_fmac_f16_e32 v18, 0.5, v0
	v_add_f16_e32 v0, v17, v22
	v_add_f16_e32 v6, v27, v6
	v_mul_f16_e32 v26, -0.5, v3
	v_mul_f16_e32 v3, 0xbaee, v3
	v_add_f16_e32 v5, v46, v5
	v_add_f16_e32 v2, v2, v23
	v_fmamk_f16 v20, v4, 0x3aee, v7
	v_fmac_f16_e32 v7, 0xbaee, v4
	v_add_f16_e32 v0, v0, v25
	v_mov_b32_e32 v22, 60
	v_add_f16_e32 v6, v6, v24
	v_fmac_f16_e32 v26, 0x3aee, v21
	v_fmac_f16_e32 v3, -0.5, v21
	v_sub_f16_e32 v44, v19, v1
	v_sub_f16_e32 v4, v5, v2
	;; [unrolled: 1-line block ×3, first 2 shown]
	v_add_f16_e32 v1, v19, v1
	v_add_f16_e32 v2, v5, v2
	v_mul_u32_u24_sdwa v5, v41, v22 dst_sel:DWORD dst_unused:UNUSED_PAD src0_sel:WORD_0 src1_sel:DWORD
	v_add_f16_e32 v19, v0, v6
	v_add_f16_e32 v7, v7, v18
	v_sub_f16_e32 v17, v20, v3
	v_add_f16_e32 v23, v28, v26
	v_add_f16_e32 v3, v20, v3
	v_sub_f16_e32 v0, v0, v6
	v_sub_f16_e32 v43, v28, v26
	v_add_lshl_u32 v5, v5, v42, 2
	v_pack_b32_f16 v2, v19, v2
	v_pack_b32_f16 v1, v7, v1
	;; [unrolled: 1-line block ×6, first 2 shown]
	ds_write2_b32 v5, v2, v1 offset1:10
	ds_write2_b32 v5, v3, v0 offset0:20 offset1:30
	ds_write2_b32 v5, v4, v6 offset0:40 offset1:50
.LBB0_9:
	s_or_b32 exec_lo, exec_lo, s0
	s_waitcnt lgkmcnt(0)
	s_barrier
	buffer_gl0_inv
	ds_read2_b32 v[3:4], v38 offset1:60
	ds_read2_b32 v[5:6], v38 offset0:120 offset1:180
	v_add_nc_u32_e32 v2, 0x200, v38
	v_add_nc_u32_e32 v1, 0x400, v38
	v_add_nc_u32_e32 v0, 0x600, v38
	ds_read2_b32 v[17:18], v2 offset0:112 offset1:172
	ds_read2_b32 v[19:20], v1 offset0:104 offset1:164
	;; [unrolled: 1-line block ×3, first 2 shown]
	s_mov_b32 s2, 0xb4e81b4f
	s_mov_b32 s3, 0x3f5b4e81
	s_waitcnt lgkmcnt(4)
	v_lshrrev_b32_e32 v23, 16, v4
	s_waitcnt lgkmcnt(3)
	v_lshrrev_b32_e32 v24, 16, v5
	v_lshrrev_b32_e32 v25, 16, v6
	v_mul_f16_sdwa v26, v12, v4 dst_sel:DWORD dst_unused:UNUSED_PAD src0_sel:WORD_1 src1_sel:DWORD
	v_mul_f16_sdwa v28, v14, v6 dst_sel:DWORD dst_unused:UNUSED_PAD src0_sel:WORD_1 src1_sel:DWORD
	s_waitcnt lgkmcnt(2)
	v_lshrrev_b32_e32 v41, 16, v17
	s_waitcnt lgkmcnt(1)
	v_lshrrev_b32_e32 v43, 16, v19
	v_mul_f16_sdwa v48, v12, v23 dst_sel:DWORD dst_unused:UNUSED_PAD src0_sel:WORD_1 src1_sel:DWORD
	v_mul_f16_sdwa v49, v13, v24 dst_sel:DWORD dst_unused:UNUSED_PAD src0_sel:WORD_1 src1_sel:DWORD
	v_fma_f16 v23, v12, v23, -v26
	v_mul_f16_sdwa v26, v14, v25 dst_sel:DWORD dst_unused:UNUSED_PAD src0_sel:WORD_1 src1_sel:DWORD
	v_mul_f16_sdwa v27, v13, v5 dst_sel:DWORD dst_unused:UNUSED_PAD src0_sel:WORD_1 src1_sel:DWORD
	v_lshrrev_b32_e32 v42, 16, v18
	s_waitcnt lgkmcnt(0)
	v_lshrrev_b32_e32 v46, 16, v21
	v_fmac_f16_e32 v48, v12, v4
	v_fmac_f16_e32 v49, v13, v5
	v_mul_f16_sdwa v4, v15, v41 dst_sel:DWORD dst_unused:UNUSED_PAD src0_sel:WORD_1 src1_sel:DWORD
	v_mul_f16_sdwa v5, v15, v17 dst_sel:DWORD dst_unused:UNUSED_PAD src0_sel:WORD_1 src1_sel:DWORD
	v_fmac_f16_e32 v26, v14, v6
	v_fma_f16 v6, v14, v25, -v28
	v_mul_f16_sdwa v14, v9, v43 dst_sel:DWORD dst_unused:UNUSED_PAD src0_sel:WORD_1 src1_sel:DWORD
	v_fma_f16 v24, v13, v24, -v27
	v_mul_f16_sdwa v12, v8, v42 dst_sel:DWORD dst_unused:UNUSED_PAD src0_sel:WORD_1 src1_sel:DWORD
	v_fmac_f16_e32 v4, v15, v17
	v_fma_f16 v5, v15, v41, -v5
	v_mul_f16_sdwa v13, v8, v18 dst_sel:DWORD dst_unused:UNUSED_PAD src0_sel:WORD_1 src1_sel:DWORD
	v_mul_f16_sdwa v15, v9, v19 dst_sel:DWORD dst_unused:UNUSED_PAD src0_sel:WORD_1 src1_sel:DWORD
	v_fmac_f16_e32 v14, v9, v19
	v_mul_f16_sdwa v19, v11, v46 dst_sel:DWORD dst_unused:UNUSED_PAD src0_sel:WORD_1 src1_sel:DWORD
	v_fmac_f16_e32 v12, v8, v18
	v_fma_f16 v8, v8, v42, -v13
	v_mul_f16_sdwa v13, v11, v21 dst_sel:DWORD dst_unused:UNUSED_PAD src0_sel:WORD_1 src1_sel:DWORD
	v_lshrrev_b32_e32 v44, 16, v20
	v_fmac_f16_e32 v19, v11, v21
	v_fma_f16 v9, v9, v43, -v15
	v_add_f16_e32 v18, v4, v14
	v_fma_f16 v13, v11, v46, -v13
	v_add_f16_e32 v25, v3, v49
	v_add_f16_e32 v41, v49, v19
	v_lshrrev_b32_e32 v7, 16, v3
	v_mul_f16_sdwa v17, v10, v44 dst_sel:DWORD dst_unused:UNUSED_PAD src0_sel:WORD_1 src1_sel:DWORD
	v_mul_f16_sdwa v15, v10, v20 dst_sel:DWORD dst_unused:UNUSED_PAD src0_sel:WORD_1 src1_sel:DWORD
	v_fma_f16 v18, -0.5, v18, v3
	v_sub_f16_e32 v27, v24, v13
	v_add_f16_e32 v11, v25, v4
	v_sub_f16_e32 v21, v5, v9
	v_sub_f16_e32 v25, v49, v4
	;; [unrolled: 1-line block ×3, first 2 shown]
	v_fmac_f16_e32 v3, -0.5, v41
	v_fmac_f16_e32 v17, v10, v20
	v_fma_f16 v10, v10, v44, -v15
	v_fmamk_f16 v15, v27, 0xbb9c, v18
	v_add_f16_e32 v25, v25, v28
	v_fmac_f16_e32 v18, 0x3b9c, v27
	v_fmamk_f16 v28, v21, 0x3b9c, v3
	v_add_f16_e32 v43, v7, v24
	v_fmac_f16_e32 v3, 0xbb9c, v21
	v_lshrrev_b32_e32 v47, 16, v22
	v_add_f16_e32 v11, v11, v14
	v_sub_f16_e32 v41, v4, v49
	v_sub_f16_e32 v42, v14, v19
	v_add_f16_e32 v44, v5, v9
	v_fmac_f16_e32 v15, 0xb8b4, v21
	v_fmac_f16_e32 v18, 0x38b4, v21
	;; [unrolled: 1-line block ×3, first 2 shown]
	v_add_f16_e32 v21, v43, v5
	v_fmac_f16_e32 v3, 0x38b4, v27
	v_add_f16_e32 v27, v24, v13
	v_mul_f16_sdwa v20, v45, v47 dst_sel:DWORD dst_unused:UNUSED_PAD src0_sel:WORD_1 src1_sel:DWORD
	v_add_f16_e32 v11, v11, v19
	v_add_f16_e32 v41, v41, v42
	v_fma_f16 v42, -0.5, v44, v7
	v_sub_f16_e32 v19, v49, v19
	v_add_f16_e32 v21, v21, v9
	v_sub_f16_e32 v4, v4, v14
	v_fmac_f16_e32 v7, -0.5, v27
	v_fmac_f16_e32 v20, v45, v22
	v_mul_f16_sdwa v22, v45, v22 dst_sel:DWORD dst_unused:UNUSED_PAD src0_sel:WORD_1 src1_sel:DWORD
	v_fmac_f16_e32 v15, 0x34f2, v25
	v_fmac_f16_e32 v18, 0x34f2, v25
	v_fmamk_f16 v25, v19, 0x3b9c, v42
	v_sub_f16_e32 v14, v24, v5
	v_sub_f16_e32 v43, v13, v9
	v_fmac_f16_e32 v42, 0xbb9c, v19
	v_sub_f16_e32 v5, v5, v24
	v_sub_f16_e32 v9, v9, v13
	v_add_f16_e32 v21, v21, v13
	v_fmamk_f16 v27, v4, 0xbb9c, v7
	v_add_f16_e32 v13, v48, v26
	v_fmac_f16_e32 v7, 0x3b9c, v4
	v_fma_f16 v22, v45, v47, -v22
	v_fmac_f16_e32 v25, 0x38b4, v4
	v_add_f16_e32 v14, v14, v43
	v_fmac_f16_e32 v42, 0xb8b4, v4
	v_add_f16_e32 v5, v5, v9
	v_add_f16_e32 v9, v12, v17
	v_fmac_f16_e32 v27, 0x38b4, v19
	v_add_f16_e32 v4, v13, v12
	v_fmac_f16_e32 v7, 0xb8b4, v19
	;; [unrolled: 2-line block ×3, first 2 shown]
	v_fmac_f16_e32 v42, 0x34f2, v14
	v_fma_f16 v9, -0.5, v9, v48
	v_sub_f16_e32 v14, v6, v22
	v_fmac_f16_e32 v27, 0x34f2, v5
	v_fmac_f16_e32 v7, 0x34f2, v5
	v_sub_f16_e32 v5, v8, v10
	v_fmac_f16_e32 v48, -0.5, v13
	v_fmamk_f16 v13, v14, 0xbb9c, v9
	v_sub_f16_e32 v19, v26, v12
	v_sub_f16_e32 v24, v20, v17
	v_fmac_f16_e32 v9, 0x3b9c, v14
	v_fmac_f16_e32 v28, 0x34f2, v41
	;; [unrolled: 1-line block ×3, first 2 shown]
	v_fmamk_f16 v41, v5, 0x3b9c, v48
	v_fmac_f16_e32 v48, 0xbb9c, v5
	v_sub_f16_e32 v43, v12, v26
	v_sub_f16_e32 v44, v17, v20
	v_fmac_f16_e32 v13, 0xb8b4, v5
	v_add_f16_e32 v19, v19, v24
	v_fmac_f16_e32 v9, 0x38b4, v5
	v_add_f16_e32 v5, v8, v10
	v_add_f16_e32 v4, v4, v17
	v_fmac_f16_e32 v41, 0xb8b4, v14
	v_fmac_f16_e32 v48, 0x38b4, v14
	v_add_f16_e32 v14, v6, v22
	v_add_f16_e32 v24, v43, v44
	v_fmac_f16_e32 v13, 0x34f2, v19
	v_fmac_f16_e32 v9, 0x34f2, v19
	v_fma_f16 v5, -0.5, v5, v23
	v_sub_f16_e32 v19, v26, v20
	v_add_f16_e32 v4, v4, v20
	v_add_f16_e32 v20, v23, v6
	v_sub_f16_e32 v12, v12, v17
	v_fmac_f16_e32 v23, -0.5, v14
	v_fmac_f16_e32 v41, 0x34f2, v24
	v_fmac_f16_e32 v48, 0x34f2, v24
	v_fmamk_f16 v14, v19, 0x3b9c, v5
	v_sub_f16_e32 v17, v6, v8
	v_sub_f16_e32 v24, v22, v10
	v_fmamk_f16 v26, v12, 0xbb9c, v23
	v_sub_f16_e32 v6, v8, v6
	v_sub_f16_e32 v43, v10, v22
	v_fmac_f16_e32 v23, 0x3b9c, v12
	v_fmac_f16_e32 v5, 0xbb9c, v19
	;; [unrolled: 1-line block ×3, first 2 shown]
	v_add_f16_e32 v17, v17, v24
	v_fmac_f16_e32 v26, 0x38b4, v19
	v_add_f16_e32 v6, v6, v43
	v_fmac_f16_e32 v23, 0xb8b4, v19
	v_fmac_f16_e32 v5, 0xb8b4, v12
	v_add_f16_e32 v8, v20, v8
	v_fmac_f16_e32 v14, 0x34f2, v17
	v_fmac_f16_e32 v26, 0x34f2, v6
	;; [unrolled: 1-line block ×4, first 2 shown]
	v_add_f16_e32 v6, v8, v10
	v_mul_f16_e32 v8, 0xb8b4, v14
	v_mul_f16_e32 v14, 0x3a79, v14
	;; [unrolled: 1-line block ×8, first 2 shown]
	v_add_f16_e32 v6, v6, v22
	v_fmac_f16_e32 v8, 0x3a79, v13
	v_fmac_f16_e32 v14, 0x38b4, v13
	;; [unrolled: 1-line block ×8, first 2 shown]
	v_add_f16_e32 v19, v11, v4
	v_add_f16_e32 v20, v15, v8
	;; [unrolled: 1-line block ×10, first 2 shown]
	v_sub_f16_e32 v4, v11, v4
	v_sub_f16_e32 v6, v21, v6
	v_sub_f16_e32 v8, v15, v8
	v_sub_f16_e32 v10, v28, v10
	v_sub_f16_e32 v3, v3, v12
	v_sub_f16_e32 v12, v25, v14
	v_sub_f16_e32 v14, v27, v26
	v_sub_f16_e32 v11, v18, v17
	v_sub_f16_e32 v7, v7, v23
	v_sub_f16_e32 v5, v42, v5
	v_pack_b32_f16 v9, v19, v9
	v_pack_b32_f16 v13, v20, v13
	;; [unrolled: 1-line block ×10, first 2 shown]
	ds_write2_b32 v38, v9, v13 offset1:60
	ds_write2_b32 v38, v15, v17 offset0:120 offset1:180
	ds_write2_b32 v2, v18, v4 offset0:112 offset1:172
	;; [unrolled: 1-line block ×4, first 2 shown]
	s_waitcnt lgkmcnt(0)
	s_barrier
	buffer_gl0_inv
	ds_read2_b32 v[3:4], v38 offset1:60
	v_mad_u64_u32 v[9:10], null, s10, v16, 0
	s_waitcnt lgkmcnt(0)
	v_lshrrev_b32_e32 v7, 16, v3
	v_lshrrev_b32_e32 v15, 16, v4
	v_mul_f16_sdwa v5, v40, v7 dst_sel:DWORD dst_unused:UNUSED_PAD src0_sel:WORD_1 src1_sel:DWORD
	v_fmac_f16_e32 v5, v40, v3
	v_mul_f16_sdwa v3, v40, v3 dst_sel:DWORD dst_unused:UNUSED_PAD src0_sel:WORD_1 src1_sel:DWORD
	v_cvt_f32_f16_e32 v5, v5
	v_fma_f16 v3, v40, v7, -v3
	v_cvt_f64_f32_e32 v[5:6], v5
	v_cvt_f32_f16_e32 v3, v3
	v_cvt_f64_f32_e32 v[7:8], v3
	v_mul_f64 v[5:6], v[5:6], s[2:3]
	v_mul_f64 v[7:8], v[7:8], s[2:3]
	v_and_or_b32 v3, 0x1ff, v6, v5
	v_lshrrev_b32_e32 v5, 8, v6
	v_bfe_u32 v11, v6, 20, 11
	v_cmp_ne_u32_e32 vcc_lo, 0, v3
	v_and_or_b32 v7, 0x1ff, v8, v7
	v_lshrrev_b32_e32 v14, 8, v8
	v_bfe_u32 v17, v8, 20, 11
	v_add_nc_u32_e32 v19, 0xfffffc10, v11
	v_cndmask_b32_e64 v3, 0, 1, vcc_lo
	v_cmp_ne_u32_e32 vcc_lo, 0, v7
	v_sub_nc_u32_e32 v18, 0x3f1, v17
	v_cmp_eq_u32_e64 s1, 0x40f, v19
	v_and_or_b32 v5, 0xffe, v5, v3
	v_sub_nc_u32_e32 v3, 0x3f1, v11
	v_cndmask_b32_e64 v7, 0, 1, vcc_lo
	v_med3_i32 v18, v18, 0, 13
	v_or_b32_e32 v12, 0x1000, v5
	v_med3_i32 v3, v3, 0, 13
	v_and_or_b32 v7, 0xffe, v14, v7
	v_mul_f16_sdwa v14, v39, v15 dst_sel:DWORD dst_unused:UNUSED_PAD src0_sel:WORD_1 src1_sel:DWORD
	v_lshl_or_b32 v11, v19, 12, v5
	v_lshrrev_b32_e32 v13, v3, v12
	v_or_b32_e32 v20, 0x1000, v7
	v_fmac_f16_e32 v14, v39, v4
	v_lshlrev_b32_e32 v3, v3, v13
	v_lshrrev_b32_e32 v21, v18, v20
	v_cmp_ne_u32_e32 vcc_lo, v3, v12
	v_cvt_f32_f16_e32 v12, v14
	v_cndmask_b32_e64 v3, 0, 1, vcc_lo
	v_cmp_gt_i32_e32 vcc_lo, 1, v19
	v_or_b32_e32 v3, v13, v3
	v_cndmask_b32_e32 v22, v11, v3, vcc_lo
	v_mov_b32_e32 v3, v10
	v_lshlrev_b32_e32 v10, v18, v21
	v_cvt_f64_f32_e32 v[11:12], v12
	v_and_b32_e32 v18, 7, v22
	v_mad_u64_u32 v[13:14], null, s11, v16, v[3:4]
	v_cmp_ne_u32_e32 vcc_lo, v10, v20
	v_lshrrev_b32_e32 v10, 2, v22
	v_cmp_eq_u32_e64 s0, 3, v18
	v_add_nc_u32_e32 v16, 0xfffffc10, v17
	v_mul_f16_sdwa v4, v39, v4 dst_sel:DWORD dst_unused:UNUSED_PAD src0_sel:WORD_1 src1_sel:DWORD
	v_cndmask_b32_e64 v3, 0, 1, vcc_lo
	v_cmp_lt_i32_e32 vcc_lo, 5, v18
	v_lshl_or_b32 v14, v16, 12, v7
	v_fma_f16 v15, v39, v15, -v4
	v_or_b32_e32 v3, v21, v3
	s_or_b32 vcc_lo, s0, vcc_lo
	v_add_co_ci_u32_e32 v10, vcc_lo, 0, v10, vcc_lo
	v_cmp_gt_i32_e32 vcc_lo, 1, v16
	v_cndmask_b32_e32 v14, v14, v3, vcc_lo
	v_cmp_ne_u32_e32 vcc_lo, 0, v5
	v_mul_f64 v[3:4], v[11:12], s[2:3]
	v_cvt_f32_f16_e32 v12, v15
	v_and_b32_e32 v11, 7, v14
	v_cndmask_b32_e64 v5, 0, 1, vcc_lo
	v_cmp_gt_i32_e32 vcc_lo, 31, v19
	v_lshrrev_b32_e32 v14, 2, v14
	v_cmp_eq_u32_e64 s0, 3, v11
	v_lshl_or_b32 v5, v5, 9, 0x7c00
	v_cndmask_b32_e32 v15, 0x7c00, v10, vcc_lo
	v_cmp_lt_i32_e32 vcc_lo, 5, v11
	v_cvt_f64_f32_e32 v[10:11], v12
	v_cndmask_b32_e64 v12, v15, v5, s1
	s_or_b32 vcc_lo, s0, vcc_lo
	v_lshrrev_b32_e32 v15, 16, v6
	v_add_co_ci_u32_e32 v14, vcc_lo, 0, v14, vcc_lo
	v_cmp_ne_u32_e32 vcc_lo, 0, v7
	ds_read2_b32 v[5:6], v38 offset0:120 offset1:180
	v_and_or_b32 v3, 0x1ff, v4, v3
	v_lshrrev_b32_e32 v19, 8, v4
	v_bfe_u32 v20, v4, 20, 11
	v_cndmask_b32_e64 v7, 0, 1, vcc_lo
	v_cmp_gt_i32_e32 vcc_lo, 31, v16
	v_and_or_b32 v17, 0x8000, v15, v12
	v_lshl_or_b32 v7, v7, 9, 0x7c00
	v_cndmask_b32_e32 v18, 0x7c00, v14, vcc_lo
	v_cmp_ne_u32_e32 vcc_lo, 0, v3
	v_mad_u64_u32 v[14:15], null, s8, v36, 0
	v_mul_f64 v[11:12], v[10:11], s[2:3]
	v_cndmask_b32_e64 v3, 0, 1, vcc_lo
	v_cmp_eq_u32_e32 vcc_lo, 0x40f, v16
	v_and_or_b32 v16, 0xffe, v19, v3
	v_cndmask_b32_e32 v10, v18, v7, vcc_lo
	v_sub_nc_u32_e32 v7, 0x3f1, v20
	s_waitcnt lgkmcnt(0)
	v_lshrrev_b32_e32 v18, 16, v5
	v_lshrrev_b32_e32 v19, 16, v8
	v_mov_b32_e32 v3, v15
	v_or_b32_e32 v21, 0x1000, v16
	v_med3_i32 v22, v7, 0, 13
	v_mul_f16_sdwa v15, v37, v18 dst_sel:DWORD dst_unused:UNUSED_PAD src0_sel:WORD_1 src1_sel:DWORD
	v_mad_u64_u32 v[7:8], null, s9, v36, v[3:4]
	v_and_or_b32 v3, 0x8000, v19, v10
	v_lshrrev_b32_e32 v19, v22, v21
	v_fmac_f16_e32 v15, v37, v5
	v_and_b32_e32 v8, 0xffff, v17
	v_mov_b32_e32 v10, v13
	v_and_or_b32 v11, 0x1ff, v12, v11
	v_lshlrev_b32_e32 v17, v22, v19
	v_cvt_f32_f16_e32 v13, v15
	v_mov_b32_e32 v15, v7
	v_lshl_or_b32 v3, v3, 16, v8
	v_lshlrev_b64 v[9:10], 2, v[9:10]
	v_cmp_ne_u32_e32 vcc_lo, v17, v21
	v_cvt_f64_f32_e32 v[7:8], v13
	v_add_nc_u32_e32 v17, 0xfffffc10, v20
	v_lshrrev_b32_e32 v20, 8, v12
	v_bfe_u32 v21, v12, 20, 11
	v_cndmask_b32_e64 v13, 0, 1, vcc_lo
	v_cmp_ne_u32_e32 vcc_lo, 0, v11
	v_mul_f16_sdwa v5, v37, v5 dst_sel:DWORD dst_unused:UNUSED_PAD src0_sel:WORD_1 src1_sel:DWORD
	v_lshrrev_b32_e32 v12, 16, v12
	v_or_b32_e32 v13, v19, v13
	v_cndmask_b32_e64 v11, 0, 1, vcc_lo
	v_add_co_u32 v22, vcc_lo, s4, v9
	v_add_co_ci_u32_e32 v23, vcc_lo, s5, v10, vcc_lo
	v_and_or_b32 v11, 0xffe, v20, v11
	v_sub_nc_u32_e32 v20, 0x3f1, v21
	v_lshl_or_b32 v19, v17, 12, v16
	v_lshlrev_b64 v[9:10], 2, v[14:15]
	v_cmp_gt_i32_e32 vcc_lo, 1, v17
	v_or_b32_e32 v14, 0x1000, v11
	v_med3_i32 v15, v20, 0, 13
	v_mul_f64 v[7:8], v[7:8], s[2:3]
	v_fma_f16 v5, v37, v18, -v5
	v_cndmask_b32_e32 v13, v19, v13, vcc_lo
	v_add_co_u32 v9, vcc_lo, v22, v9
	v_add_co_ci_u32_e32 v10, vcc_lo, v23, v10, vcc_lo
	v_lshrrev_b32_e32 v19, v15, v14
	v_and_b32_e32 v20, 7, v13
	v_cvt_f32_f16_e32 v5, v5
	global_store_dword v[9:10], v3, off
	v_add_nc_u32_e32 v18, 0xfffffc10, v21
	v_lshlrev_b32_e32 v3, v15, v19
	v_cmp_lt_i32_e32 vcc_lo, 5, v20
	v_cmp_eq_u32_e64 s0, 3, v20
	v_lshrrev_b32_e32 v15, 2, v13
	s_mul_hi_u32 s4, s8, 0xf0
	v_cmp_ne_u32_e64 s1, v3, v14
	v_cvt_f64_f32_e32 v[13:14], v5
	s_or_b32 vcc_lo, s0, vcc_lo
	s_mul_i32 s5, s8, 0xf0
	v_add_co_ci_u32_e32 v5, vcc_lo, 0, v15, vcc_lo
	v_cndmask_b32_e64 v3, 0, 1, s1
	v_cmp_ne_u32_e32 vcc_lo, 0, v16
	v_lshl_or_b32 v15, v18, 12, v11
	v_and_or_b32 v7, 0x1ff, v8, v7
	v_cmp_eq_u32_e64 s1, 0x40f, v17
	v_or_b32_e32 v3, v19, v3
	v_cndmask_b32_e64 v16, 0, 1, vcc_lo
	v_cmp_gt_i32_e32 vcc_lo, 1, v18
	v_bfe_u32 v19, v8, 20, 11
	v_lshl_or_b32 v16, v16, 9, 0x7c00
	v_cndmask_b32_e32 v3, v15, v3, vcc_lo
	v_cmp_ne_u32_e32 vcc_lo, 0, v7
	v_lshrrev_b32_e32 v15, 8, v8
	v_and_b32_e32 v20, 7, v3
	v_cndmask_b32_e64 v7, 0, 1, vcc_lo
	v_cmp_gt_i32_e32 vcc_lo, 31, v17
	v_mul_f64 v[13:14], v[13:14], s[2:3]
	v_lshrrev_b32_e32 v3, 2, v3
	v_cmp_eq_u32_e64 s0, 3, v20
	v_and_or_b32 v7, 0xffe, v15, v7
	v_sub_nc_u32_e32 v15, 0x3f1, v19
	v_cndmask_b32_e32 v5, 0x7c00, v5, vcc_lo
	v_cmp_lt_i32_e32 vcc_lo, 5, v20
	v_lshrrev_b32_e32 v17, 16, v4
	v_or_b32_e32 v21, 0x1000, v7
	v_med3_i32 v15, v15, 0, 13
	v_cndmask_b32_e64 v5, v5, v16, s1
	s_or_b32 vcc_lo, s0, vcc_lo
	v_add_nc_u32_e32 v19, 0xfffffc10, v19
	v_add_co_ci_u32_e32 v3, vcc_lo, 0, v3, vcc_lo
	v_lshrrev_b32_e32 v16, v15, v21
	v_cmp_ne_u32_e32 vcc_lo, 0, v11
	v_and_or_b32 v5, 0x8000, v17, v5
	v_lshlrev_b32_e32 v4, v15, v16
	v_cndmask_b32_e64 v11, 0, 1, vcc_lo
	v_cmp_gt_i32_e32 vcc_lo, 31, v18
	v_lshrrev_b32_e32 v15, 16, v6
	v_and_or_b32 v13, 0x1ff, v14, v13
	v_and_b32_e32 v5, 0xffff, v5
	v_lshl_or_b32 v11, v11, 9, 0x7c00
	v_cndmask_b32_e32 v3, 0x7c00, v3, vcc_lo
	v_cmp_ne_u32_e32 vcc_lo, v4, v21
	v_mul_f16_sdwa v20, v35, v15 dst_sel:DWORD dst_unused:UNUSED_PAD src0_sel:WORD_1 src1_sel:DWORD
	v_cndmask_b32_e64 v4, 0, 1, vcc_lo
	v_cmp_eq_u32_e32 vcc_lo, 0x40f, v18
	v_fmac_f16_e32 v20, v35, v6
	v_bfe_u32 v18, v14, 20, 11
	v_mul_f16_sdwa v6, v35, v6 dst_sel:DWORD dst_unused:UNUSED_PAD src0_sel:WORD_1 src1_sel:DWORD
	v_cndmask_b32_e32 v11, v3, v11, vcc_lo
	v_cmp_ne_u32_e32 vcc_lo, 0, v13
	v_or_b32_e32 v3, v16, v4
	v_lshrrev_b32_e32 v16, 8, v14
	v_lshl_or_b32 v4, v19, 12, v7
	v_cvt_f32_f16_e32 v20, v20
	v_cndmask_b32_e64 v13, 0, 1, vcc_lo
	v_cmp_gt_i32_e32 vcc_lo, 1, v19
	v_and_or_b32 v11, 0x8000, v12, v11
	v_fma_f16 v6, v35, v15, -v6
	v_lshrrev_b32_e32 v14, 16, v14
	v_and_or_b32 v13, 0xffe, v16, v13
	v_sub_nc_u32_e32 v16, 0x3f1, v18
	v_cndmask_b32_e32 v21, v4, v3, vcc_lo
	v_cvt_f64_f32_e32 v[3:4], v20
	v_or_b32_e32 v20, 0x1000, v13
	v_med3_i32 v16, v16, 0, 13
	v_and_b32_e32 v17, 7, v21
	v_lshrrev_b32_e32 v12, v16, v20
	v_cmp_lt_i32_e32 vcc_lo, 5, v17
	v_cmp_eq_u32_e64 s0, 3, v17
	v_lshl_or_b32 v17, v11, 16, v5
	v_lshrrev_b32_e32 v5, 2, v21
	v_lshlrev_b32_e32 v11, v16, v12
	v_add_nc_u32_e32 v16, 0xfffffc10, v18
	s_or_b32 vcc_lo, s0, vcc_lo
	s_mul_i32 s0, s9, 0xf0
	v_add_co_ci_u32_e32 v15, vcc_lo, 0, v5, vcc_lo
	v_cmp_ne_u32_e32 vcc_lo, v11, v20
	v_cvt_f32_f16_e32 v5, v6
	s_add_i32 s4, s4, s0
	v_mul_f64 v[3:4], v[3:4], s[2:3]
	v_cndmask_b32_e64 v11, 0, 1, vcc_lo
	v_cmp_ne_u32_e32 vcc_lo, 0, v7
	v_cvt_f64_f32_e32 v[5:6], v5
	v_or_b32_e32 v11, v12, v11
	v_cndmask_b32_e64 v7, 0, 1, vcc_lo
	v_cmp_gt_i32_e32 vcc_lo, 31, v19
	v_lshl_or_b32 v12, v16, 12, v13
	v_lshl_or_b32 v7, v7, 9, 0x7c00
	v_cndmask_b32_e32 v15, 0x7c00, v15, vcc_lo
	v_cmp_gt_i32_e32 vcc_lo, 1, v16
	v_cndmask_b32_e32 v11, v12, v11, vcc_lo
	v_cmp_eq_u32_e32 vcc_lo, 0x40f, v19
	v_cndmask_b32_e32 v12, v15, v7, vcc_lo
	v_lshrrev_b32_e32 v15, 16, v8
	ds_read2_b32 v[7:8], v2 offset0:112 offset1:172
	v_and_b32_e32 v2, 7, v11
	v_and_or_b32 v12, 0x8000, v15, v12
	v_and_or_b32 v15, 0x1ff, v4, v3
	v_cmp_lt_i32_e32 vcc_lo, 5, v2
	v_cmp_eq_u32_e64 s0, 3, v2
	v_mul_f64 v[2:3], v[5:6], s[2:3]
	v_lshrrev_b32_e32 v5, 2, v11
	v_cmp_ne_u32_e64 s1, 0, v15
	v_lshrrev_b32_e32 v11, 8, v4
	v_bfe_u32 v15, v4, 20, 11
	s_or_b32 vcc_lo, s0, vcc_lo
	v_and_b32_e32 v12, 0xffff, v12
	v_cndmask_b32_e64 v6, 0, 1, s1
	v_add_co_ci_u32_e32 v5, vcc_lo, 0, v5, vcc_lo
	v_cmp_ne_u32_e32 vcc_lo, 0, v13
	v_and_or_b32 v18, 0xffe, v11, v6
	v_sub_nc_u32_e32 v6, 0x3f1, v15
	s_waitcnt lgkmcnt(0)
	v_lshrrev_b32_e32 v19, 16, v7
	v_cndmask_b32_e64 v11, 0, 1, vcc_lo
	v_cmp_gt_i32_e32 vcc_lo, 31, v16
	v_or_b32_e32 v13, 0x1000, v18
	v_med3_i32 v6, v6, 0, 13
	v_mul_f16_sdwa v20, v34, v19 dst_sel:DWORD dst_unused:UNUSED_PAD src0_sel:WORD_1 src1_sel:DWORD
	v_lshl_or_b32 v11, v11, 9, 0x7c00
	v_cndmask_b32_e32 v5, 0x7c00, v5, vcc_lo
	v_and_or_b32 v2, 0x1ff, v3, v2
	v_lshrrev_b32_e32 v21, v6, v13
	v_cmp_eq_u32_e32 vcc_lo, 0x40f, v16
	v_fmac_f16_e32 v20, v34, v7
	v_bfe_u32 v22, v3, 20, 11
	v_add_nc_u32_e32 v15, 0xfffffc10, v15
	v_lshlrev_b32_e32 v16, v6, v21
	v_cndmask_b32_e32 v11, v5, v11, vcc_lo
	v_cmp_ne_u32_e32 vcc_lo, 0, v2
	v_cvt_f32_f16_e32 v5, v20
	v_lshrrev_b32_e32 v20, 8, v3
	v_mul_f16_sdwa v7, v34, v7 dst_sel:DWORD dst_unused:UNUSED_PAD src0_sel:WORD_1 src1_sel:DWORD
	v_and_or_b32 v11, 0x8000, v14, v11
	v_cndmask_b32_e64 v2, 0, 1, vcc_lo
	v_cmp_ne_u32_e32 vcc_lo, v16, v13
	v_cvt_f64_f32_e32 v[5:6], v5
	v_sub_nc_u32_e32 v16, 0x3f1, v22
	v_fma_f16 v7, v34, v19, -v7
	v_and_or_b32 v2, 0xffe, v20, v2
	v_cndmask_b32_e64 v13, 0, 1, vcc_lo
	v_lshl_or_b32 v20, v15, 12, v18
	v_med3_i32 v16, v16, 0, 13
	v_cmp_gt_i32_e32 vcc_lo, 1, v15
	v_cvt_f32_f16_e32 v7, v7
	v_or_b32_e32 v13, v21, v13
	v_or_b32_e32 v21, 0x1000, v2
	v_add_nc_u32_e32 v19, 0xfffffc10, v22
	v_cndmask_b32_e32 v13, v20, v13, vcc_lo
	v_lshrrev_b32_e32 v14, v16, v21
	v_add_co_u32 v9, vcc_lo, v9, s5
	v_add_co_ci_u32_e32 v10, vcc_lo, s4, v10, vcc_lo
	v_lshlrev_b32_e32 v16, v16, v14
	v_and_b32_e32 v23, 7, v13
	v_mul_f64 v[5:6], v[5:6], s[2:3]
	v_lshl_or_b32 v20, v11, 16, v12
	v_add_co_u32 v11, vcc_lo, v9, s5
	v_cmp_ne_u32_e64 s0, v16, v21
	v_add_co_ci_u32_e32 v12, vcc_lo, s4, v10, vcc_lo
	v_cmp_lt_i32_e32 vcc_lo, 5, v23
	v_lshrrev_b32_e32 v21, 2, v13
	v_cndmask_b32_e64 v16, 0, 1, s0
	v_cmp_eq_u32_e64 s0, 3, v23
	v_lshl_or_b32 v22, v19, 12, v2
	global_store_dword v[9:10], v17, off
	global_store_dword v[11:12], v20, off
	v_or_b32_e32 v16, v14, v16
	s_or_b32 vcc_lo, s0, vcc_lo
	v_cvt_f64_f32_e32 v[13:14], v7
	v_add_co_ci_u32_e32 v7, vcc_lo, 0, v21, vcc_lo
	v_cmp_ne_u32_e32 vcc_lo, 0, v18
	v_and_or_b32 v5, 0x1ff, v6, v5
	v_bfe_u32 v23, v6, 20, 11
	v_cndmask_b32_e64 v18, 0, 1, vcc_lo
	v_cmp_gt_i32_e32 vcc_lo, 1, v19
	v_lshl_or_b32 v18, v18, 9, 0x7c00
	v_cndmask_b32_e32 v16, v22, v16, vcc_lo
	v_cmp_gt_i32_e32 vcc_lo, 31, v15
	v_lshrrev_b32_e32 v22, 8, v6
	v_lshrrev_b32_e32 v6, 16, v6
	v_and_b32_e32 v21, 7, v16
	v_cndmask_b32_e32 v7, 0x7c00, v7, vcc_lo
	v_cmp_ne_u32_e32 vcc_lo, 0, v5
	v_cmp_eq_u32_e64 s0, 3, v21
	v_cndmask_b32_e64 v5, 0, 1, vcc_lo
	v_cmp_eq_u32_e32 vcc_lo, 0x40f, v15
	v_lshrrev_b32_e32 v15, 16, v4
	v_cndmask_b32_e32 v7, v7, v18, vcc_lo
	v_cmp_lt_i32_e32 vcc_lo, 5, v21
	v_and_or_b32 v18, 0xffe, v22, v5
	v_mul_f64 v[4:5], v[13:14], s[2:3]
	v_lshrrev_b32_e32 v13, 2, v16
	v_sub_nc_u32_e32 v22, 0x3f1, v23
	s_or_b32 vcc_lo, s0, vcc_lo
	v_or_b32_e32 v14, 0x1000, v18
	v_lshrrev_b32_e32 v21, 16, v8
	v_add_co_ci_u32_e32 v13, vcc_lo, 0, v13, vcc_lo
	v_med3_i32 v16, v22, 0, 13
	v_cmp_ne_u32_e32 vcc_lo, 0, v2
	v_mul_f16_sdwa v24, v33, v21 dst_sel:DWORD dst_unused:UNUSED_PAD src0_sel:WORD_1 src1_sel:DWORD
	v_and_or_b32 v7, 0x8000, v15, v7
	v_lshrrev_b32_e32 v22, v16, v14
	v_cndmask_b32_e64 v2, 0, 1, vcc_lo
	v_cmp_gt_i32_e32 vcc_lo, 31, v19
	v_fmac_f16_e32 v24, v33, v8
	v_and_b32_e32 v7, 0xffff, v7
	v_lshlrev_b32_e32 v15, v16, v22
	v_lshl_or_b32 v2, v2, 9, 0x7c00
	v_cndmask_b32_e32 v13, 0x7c00, v13, vcc_lo
	v_cmp_eq_u32_e32 vcc_lo, 0x40f, v19
	v_lshrrev_b32_e32 v16, 16, v3
	v_cvt_f32_f16_e32 v3, v24
	v_lshrrev_b32_e32 v19, 8, v5
	v_cndmask_b32_e32 v13, v13, v2, vcc_lo
	v_and_or_b32 v2, 0x1ff, v5, v4
	v_cmp_ne_u32_e32 vcc_lo, v15, v14
	v_add_nc_u32_e32 v14, 0xfffffc10, v23
	v_bfe_u32 v23, v5, 20, 11
	v_and_or_b32 v13, 0x8000, v16, v13
	v_cndmask_b32_e64 v4, 0, 1, vcc_lo
	v_cmp_ne_u32_e32 vcc_lo, 0, v2
	v_cvt_f64_f32_e32 v[2:3], v3
	v_lshl_or_b32 v16, v14, 12, v18
	v_lshl_or_b32 v13, v13, 16, v7
	v_or_b32_e32 v4, v22, v4
	v_cndmask_b32_e64 v15, 0, 1, vcc_lo
	v_cmp_gt_i32_e32 vcc_lo, 1, v14
	v_and_or_b32 v15, 0xffe, v19, v15
	v_sub_nc_u32_e32 v19, 0x3f1, v23
	v_cndmask_b32_e32 v4, v16, v4, vcc_lo
	v_add_co_u32 v9, vcc_lo, v11, s5
	v_or_b32_e32 v16, 0x1000, v15
	v_med3_i32 v19, v19, 0, 13
	v_and_b32_e32 v7, 7, v4
	v_add_co_ci_u32_e32 v10, vcc_lo, s4, v12, vcc_lo
	v_lshrrev_b32_e32 v4, 2, v4
	v_lshrrev_b32_e32 v17, v19, v16
	v_cmp_lt_i32_e32 vcc_lo, 5, v7
	v_mul_f64 v[2:3], v[2:3], s[2:3]
	v_cmp_eq_u32_e64 s0, 3, v7
	v_mul_f16_sdwa v7, v33, v8 dst_sel:DWORD dst_unused:UNUSED_PAD src0_sel:WORD_1 src1_sel:DWORD
	v_lshlrev_b32_e32 v11, v19, v17
	global_store_dword v[9:10], v13, off
	s_or_b32 vcc_lo, s0, vcc_lo
	v_fma_f16 v7, v33, v21, -v7
	v_cmp_ne_u32_e64 s1, v11, v16
	v_add_co_ci_u32_e32 v4, vcc_lo, 0, v4, vcc_lo
	v_add_nc_u32_e32 v16, 0xfffffc10, v23
	v_cmp_ne_u32_e32 vcc_lo, 0, v18
	v_cndmask_b32_e64 v8, 0, 1, s1
	v_cvt_f32_f16_e32 v11, v7
	v_lshl_or_b32 v19, v16, 12, v15
	v_or_b32_e32 v17, v17, v8
	ds_read2_b32 v[7:8], v1 offset0:104 offset1:164
	v_cndmask_b32_e64 v1, 0, 1, vcc_lo
	v_cmp_gt_i32_e32 vcc_lo, 1, v16
	v_cvt_f64_f32_e32 v[11:12], v11
	v_and_or_b32 v2, 0x1ff, v3, v2
	v_bfe_u32 v20, v3, 20, 11
	v_lshl_or_b32 v1, v1, 9, 0x7c00
	v_cndmask_b32_e32 v17, v19, v17, vcc_lo
	v_cmp_gt_i32_e32 vcc_lo, 31, v14
	v_lshrrev_b32_e32 v19, 8, v3
	v_and_b32_e32 v18, 7, v17
	v_cndmask_b32_e32 v4, 0x7c00, v4, vcc_lo
	v_cmp_ne_u32_e32 vcc_lo, 0, v2
	v_cmp_eq_u32_e64 s0, 3, v18
	v_cndmask_b32_e64 v2, 0, 1, vcc_lo
	v_cmp_eq_u32_e32 vcc_lo, 0x40f, v14
	v_and_or_b32 v19, 0xffe, v19, v2
	v_cndmask_b32_e32 v14, v4, v1, vcc_lo
	v_sub_nc_u32_e32 v1, 0x3f1, v20
	v_cmp_lt_i32_e32 vcc_lo, 5, v18
	v_lshrrev_b32_e32 v4, 2, v17
	s_waitcnt lgkmcnt(0)
	v_lshrrev_b32_e32 v18, 16, v7
	v_or_b32_e32 v17, 0x1000, v19
	v_med3_i32 v21, v1, 0, 13
	v_mul_f64 v[1:2], v[11:12], s[2:3]
	s_or_b32 vcc_lo, s0, vcc_lo
	v_mul_f16_sdwa v11, v32, v18 dst_sel:DWORD dst_unused:UNUSED_PAD src0_sel:WORD_1 src1_sel:DWORD
	v_add_co_ci_u32_e32 v4, vcc_lo, 0, v4, vcc_lo
	v_cmp_ne_u32_e32 vcc_lo, 0, v15
	v_lshrrev_b32_e32 v15, v21, v17
	v_fmac_f16_e32 v11, v32, v7
	v_and_or_b32 v6, 0x8000, v6, v14
	v_mul_f16_sdwa v7, v32, v7 dst_sel:DWORD dst_unused:UNUSED_PAD src0_sel:WORD_1 src1_sel:DWORD
	v_cndmask_b32_e64 v12, 0, 1, vcc_lo
	v_cmp_gt_i32_e32 vcc_lo, 31, v16
	v_lshlrev_b32_e32 v21, v21, v15
	v_cvt_f32_f16_e32 v11, v11
	v_and_b32_e32 v6, 0xffff, v6
	v_lshl_or_b32 v12, v12, 9, 0x7c00
	v_cndmask_b32_e32 v4, 0x7c00, v4, vcc_lo
	v_cmp_eq_u32_e32 vcc_lo, 0x40f, v16
	v_lshrrev_b32_e32 v16, 16, v5
	v_fma_f16 v7, v32, v18, -v7
	v_cndmask_b32_e32 v12, v4, v12, vcc_lo
	v_cmp_ne_u32_e32 vcc_lo, v21, v17
	v_and_or_b32 v1, 0x1ff, v2, v1
	v_cvt_f64_f32_e32 v[4:5], v11
	v_add_nc_u32_e32 v17, 0xfffffc10, v20
	v_and_or_b32 v12, 0x8000, v16, v12
	v_cndmask_b32_e64 v11, 0, 1, vcc_lo
	v_cmp_ne_u32_e32 vcc_lo, 0, v1
	v_bfe_u32 v16, v2, 20, 11
	v_lshl_or_b32 v14, v17, 12, v19
	v_lshl_or_b32 v6, v12, 16, v6
	v_or_b32_e32 v11, v15, v11
	v_cndmask_b32_e64 v1, 0, 1, vcc_lo
	v_lshrrev_b32_e32 v15, 8, v2
	v_cmp_gt_i32_e32 vcc_lo, 1, v17
	v_lshrrev_b32_e32 v2, 16, v2
	v_and_or_b32 v1, 0xffe, v15, v1
	v_cndmask_b32_e32 v11, v14, v11, vcc_lo
	v_sub_nc_u32_e32 v14, 0x3f1, v16
	v_add_co_u32 v9, vcc_lo, v9, s5
	v_or_b32_e32 v13, 0x1000, v1
	v_and_b32_e32 v12, 7, v11
	v_med3_i32 v14, v14, 0, 13
	v_add_co_ci_u32_e32 v10, vcc_lo, s4, v10, vcc_lo
	v_mul_f64 v[4:5], v[4:5], s[2:3]
	v_cmp_lt_i32_e32 vcc_lo, 5, v12
	v_lshrrev_b32_e32 v15, v14, v13
	v_cmp_eq_u32_e64 s0, 3, v12
	global_store_dword v[9:10], v6, off
	v_lshrrev_b32_e32 v6, 2, v11
	v_lshlrev_b32_e32 v11, v14, v15
	s_or_b32 vcc_lo, s0, vcc_lo
	v_add_co_ci_u32_e32 v12, vcc_lo, 0, v6, vcc_lo
	v_cmp_ne_u32_e32 vcc_lo, v11, v13
	v_cvt_f32_f16_e32 v6, v7
	v_add_nc_u32_e32 v13, 0xfffffc10, v16
	v_cndmask_b32_e64 v11, 0, 1, vcc_lo
	v_cmp_ne_u32_e32 vcc_lo, 0, v19
	v_cvt_f64_f32_e32 v[6:7], v6
	v_lshrrev_b32_e32 v19, 16, v8
	v_or_b32_e32 v11, v15, v11
	v_cndmask_b32_e64 v14, 0, 1, vcc_lo
	v_cmp_gt_i32_e32 vcc_lo, 31, v17
	v_lshl_or_b32 v15, v13, 12, v1
	v_and_or_b32 v4, 0x1ff, v5, v4
	v_bfe_u32 v16, v5, 20, 11
	v_lshl_or_b32 v14, v14, 9, 0x7c00
	v_cndmask_b32_e32 v12, 0x7c00, v12, vcc_lo
	v_cmp_gt_i32_e32 vcc_lo, 1, v13
	v_sub_nc_u32_e32 v18, 0x3f1, v16
	v_add_nc_u32_e32 v16, 0xfffffc10, v16
	v_cndmask_b32_e32 v11, v15, v11, vcc_lo
	v_cmp_ne_u32_e32 vcc_lo, 0, v4
	v_lshrrev_b32_e32 v15, 8, v5
	v_lshrrev_b32_e32 v5, 16, v5
	v_cndmask_b32_e64 v4, 0, 1, vcc_lo
	v_cmp_eq_u32_e32 vcc_lo, 0x40f, v17
	v_lshrrev_b32_e32 v17, 16, v3
	v_and_or_b32 v15, 0xffe, v15, v4
	v_cndmask_b32_e32 v12, v12, v14, vcc_lo
	v_and_b32_e32 v14, 7, v11
	v_mul_f64 v[3:4], v[6:7], s[2:3]
	v_lshrrev_b32_e32 v11, 2, v11
	v_or_b32_e32 v20, 0x1000, v15
	v_med3_i32 v6, v18, 0, 13
	v_cmp_lt_i32_e32 vcc_lo, 5, v14
	v_cmp_eq_u32_e64 s0, 3, v14
	v_mul_f16_sdwa v7, v31, v19 dst_sel:DWORD dst_unused:UNUSED_PAD src0_sel:WORD_1 src1_sel:DWORD
	v_and_or_b32 v12, 0x8000, v17, v12
	v_lshrrev_b32_e32 v14, v6, v20
	s_or_b32 vcc_lo, s0, vcc_lo
	v_fmac_f16_e32 v7, v31, v8
	v_add_co_ci_u32_e32 v11, vcc_lo, 0, v11, vcc_lo
	v_cmp_ne_u32_e32 vcc_lo, 0, v1
	v_lshlrev_b32_e32 v17, v6, v14
	v_cvt_f32_f16_e32 v7, v7
	v_and_b32_e32 v12, 0xffff, v12
	v_cndmask_b32_e64 v1, 0, 1, vcc_lo
	v_cmp_gt_i32_e32 vcc_lo, 31, v13
	v_cvt_f64_f32_e32 v[6:7], v7
	v_and_or_b32 v3, 0x1ff, v4, v3
	v_lshl_or_b32 v1, v1, 9, 0x7c00
	v_cndmask_b32_e32 v11, 0x7c00, v11, vcc_lo
	v_cmp_ne_u32_e32 vcc_lo, v17, v20
	v_cndmask_b32_e64 v17, 0, 1, vcc_lo
	v_cmp_eq_u32_e32 vcc_lo, 0x40f, v13
	v_lshl_or_b32 v13, v16, 12, v15
	v_cndmask_b32_e32 v1, v11, v1, vcc_lo
	v_cmp_ne_u32_e32 vcc_lo, 0, v3
	v_or_b32_e32 v11, v14, v17
	v_lshrrev_b32_e32 v14, 8, v4
	v_bfe_u32 v17, v4, 20, 11
	v_cndmask_b32_e64 v3, 0, 1, vcc_lo
	v_cmp_gt_i32_e32 vcc_lo, 1, v16
	v_and_or_b32 v3, 0xffe, v14, v3
	v_cndmask_b32_e32 v11, v13, v11, vcc_lo
	v_sub_nc_u32_e32 v13, 0x3f1, v17
	v_and_or_b32 v14, 0x8000, v2, v1
	v_mul_f64 v[1:2], v[6:7], s[2:3]
	v_or_b32_e32 v20, 0x1000, v3
	v_and_b32_e32 v18, 7, v11
	v_med3_i32 v13, v13, 0, 13
	v_mul_f16_sdwa v6, v31, v8 dst_sel:DWORD dst_unused:UNUSED_PAD src0_sel:WORD_1 src1_sel:DWORD
	v_lshl_or_b32 v14, v14, 16, v12
	v_add_nc_u32_e32 v17, 0xfffffc10, v17
	v_cmp_lt_i32_e32 vcc_lo, 5, v18
	v_lshrrev_b32_e32 v12, v13, v20
	v_cmp_eq_u32_e64 s0, 3, v18
	v_fma_f16 v8, v31, v19, -v6
	v_add_co_u32 v6, s1, v9, s5
	v_lshrrev_b32_e32 v9, 2, v11
	v_add_co_ci_u32_e64 v7, s1, s4, v10, s1
	v_lshlrev_b32_e32 v10, v13, v12
	s_or_b32 vcc_lo, s0, vcc_lo
	v_cvt_f32_f16_e32 v11, v8
	v_add_co_ci_u32_e32 v13, vcc_lo, 0, v9, vcc_lo
	v_cmp_ne_u32_e32 vcc_lo, v10, v20
	ds_read2_b32 v[8:9], v0 offset0:96 offset1:156
	v_and_or_b32 v1, 0x1ff, v2, v1
	v_cvt_f64_f32_e32 v[10:11], v11
	v_lshrrev_b32_e32 v18, 8, v2
	v_cndmask_b32_e64 v0, 0, 1, vcc_lo
	v_cmp_gt_i32_e32 vcc_lo, 31, v16
	v_bfe_u32 v19, v2, 20, 11
	v_or_b32_e32 v0, v12, v0
	v_cndmask_b32_e32 v13, 0x7c00, v13, vcc_lo
	v_cmp_ne_u32_e32 vcc_lo, 0, v1
	v_lshl_or_b32 v12, v17, 12, v3
	v_cndmask_b32_e64 v1, 0, 1, vcc_lo
	v_cmp_ne_u32_e32 vcc_lo, 0, v15
	s_waitcnt lgkmcnt(0)
	v_lshrrev_b32_e32 v20, 16, v8
	v_and_or_b32 v18, 0xffe, v18, v1
	v_cndmask_b32_e64 v15, 0, 1, vcc_lo
	v_cmp_gt_i32_e32 vcc_lo, 1, v17
	v_or_b32_e32 v22, 0x1000, v18
	v_lshl_or_b32 v15, v15, 9, 0x7c00
	v_cndmask_b32_e32 v12, v12, v0, vcc_lo
	v_sub_nc_u32_e32 v0, 0x3f1, v19
	v_cmp_eq_u32_e32 vcc_lo, 0x40f, v16
	v_add_nc_u32_e32 v16, 0xfffffc10, v19
	v_and_b32_e32 v21, 7, v12
	v_med3_i32 v23, v0, 0, 13
	v_mul_f64 v[0:1], v[10:11], s[2:3]
	v_cndmask_b32_e32 v11, v13, v15, vcc_lo
	v_mul_f16_sdwa v10, v30, v20 dst_sel:DWORD dst_unused:UNUSED_PAD src0_sel:WORD_1 src1_sel:DWORD
	v_cmp_lt_i32_e32 vcc_lo, 5, v21
	v_lshrrev_b32_e32 v13, v23, v22
	v_cmp_eq_u32_e64 s0, 3, v21
	v_and_or_b32 v5, 0x8000, v5, v11
	v_lshrrev_b32_e32 v11, 2, v12
	v_fmac_f16_e32 v10, v30, v8
	v_lshlrev_b32_e32 v12, v23, v13
	s_or_b32 vcc_lo, s0, vcc_lo
	v_and_b32_e32 v5, 0xffff, v5
	v_add_co_ci_u32_e32 v15, vcc_lo, 0, v11, vcc_lo
	v_cmp_ne_u32_e32 vcc_lo, v12, v22
	v_cvt_f32_f16_e32 v10, v10
	v_mul_f16_sdwa v8, v30, v8 dst_sel:DWORD dst_unused:UNUSED_PAD src0_sel:WORD_1 src1_sel:DWORD
	v_cndmask_b32_e64 v12, 0, 1, vcc_lo
	v_cmp_ne_u32_e32 vcc_lo, 0, v3
	v_cvt_f64_f32_e32 v[10:11], v10
	v_and_or_b32 v0, 0x1ff, v1, v0
	v_bfe_u32 v19, v1, 20, 11
	v_or_b32_e32 v12, v13, v12
	v_cndmask_b32_e64 v3, 0, 1, vcc_lo
	v_cmp_gt_i32_e32 vcc_lo, 31, v17
	v_lshl_or_b32 v13, v16, 12, v18
	v_fma_f16 v8, v30, v20, -v8
	v_lshl_or_b32 v3, v3, 9, 0x7c00
	v_cndmask_b32_e32 v15, 0x7c00, v15, vcc_lo
	v_cmp_gt_i32_e32 vcc_lo, 1, v16
	v_cvt_f32_f16_e32 v8, v8
	v_cndmask_b32_e32 v12, v13, v12, vcc_lo
	v_cmp_ne_u32_e32 vcc_lo, 0, v0
	v_lshrrev_b32_e32 v13, 8, v1
	v_and_b32_e32 v21, 7, v12
	v_cndmask_b32_e64 v0, 0, 1, vcc_lo
	v_cmp_eq_u32_e32 vcc_lo, 0x40f, v17
	v_lshrrev_b32_e32 v17, 16, v4
	v_lshrrev_b32_e32 v12, 2, v12
	v_cmp_eq_u32_e64 s0, 3, v21
	v_and_or_b32 v0, 0xffe, v13, v0
	v_sub_nc_u32_e32 v13, 0x3f1, v19
	v_cndmask_b32_e32 v15, v15, v3, vcc_lo
	v_cmp_lt_i32_e32 vcc_lo, 5, v21
	v_mul_f64 v[3:4], v[10:11], s[2:3]
	v_or_b32_e32 v10, 0x1000, v0
	v_med3_i32 v11, v13, 0, 13
	v_and_or_b32 v13, 0x8000, v17, v15
	s_or_b32 vcc_lo, s0, vcc_lo
	v_add_co_ci_u32_e32 v12, vcc_lo, 0, v12, vcc_lo
	v_lshrrev_b32_e32 v15, v11, v10
	v_cmp_ne_u32_e32 vcc_lo, 0, v18
	v_lshl_or_b32 v18, v13, 16, v5
	v_lshlrev_b32_e32 v5, v11, v15
	v_cndmask_b32_e64 v17, 0, 1, vcc_lo
	v_cmp_gt_i32_e32 vcc_lo, 31, v16
	v_cndmask_b32_e32 v11, 0x7c00, v12, vcc_lo
	v_cmp_ne_u32_e32 vcc_lo, v5, v10
	v_lshl_or_b32 v12, v17, 9, 0x7c00
	v_and_or_b32 v3, 0x1ff, v4, v3
	v_add_nc_u32_e32 v17, 0xfffffc10, v19
	v_cndmask_b32_e64 v5, 0, 1, vcc_lo
	v_cmp_eq_u32_e32 vcc_lo, 0x40f, v16
	v_bfe_u32 v16, v4, 20, 11
	v_lshl_or_b32 v13, v17, 12, v0
	v_or_b32_e32 v5, v15, v5
	v_cndmask_b32_e32 v12, v11, v12, vcc_lo
	v_cmp_ne_u32_e32 vcc_lo, 0, v3
	v_lshrrev_b32_e32 v15, 8, v4
	v_cvt_f64_f32_e32 v[10:11], v8
	v_lshrrev_b32_e32 v8, 16, v9
	v_lshrrev_b32_e32 v4, 16, v4
	v_cndmask_b32_e64 v3, 0, 1, vcc_lo
	v_cmp_gt_i32_e32 vcc_lo, 1, v17
	v_mul_f16_sdwa v22, v29, v8 dst_sel:DWORD dst_unused:UNUSED_PAD src0_sel:WORD_1 src1_sel:DWORD
	v_and_or_b32 v15, 0xffe, v15, v3
	v_sub_nc_u32_e32 v3, 0x3f1, v16
	v_cndmask_b32_e32 v5, v13, v5, vcc_lo
	v_lshrrev_b32_e32 v13, 16, v2
	v_add_co_u32 v2, vcc_lo, v6, s5
	v_or_b32_e32 v20, 0x1000, v15
	v_med3_i32 v21, v3, 0, 13
	v_and_b32_e32 v19, 7, v5
	v_add_co_ci_u32_e32 v3, vcc_lo, s4, v7, vcc_lo
	v_fmac_f16_e32 v22, v29, v9
	v_lshrrev_b32_e32 v24, v21, v20
	v_cmp_lt_i32_e32 vcc_lo, 5, v19
	v_cmp_eq_u32_e64 s0, 3, v19
	v_lshrrev_b32_e32 v5, 2, v5
	v_and_or_b32 v23, 0x8000, v13, v12
	v_lshlrev_b32_e32 v19, v21, v24
	v_cvt_f32_f16_e32 v12, v22
	s_or_b32 vcc_lo, s0, vcc_lo
	v_mul_f64 v[10:11], v[10:11], s[2:3]
	v_add_co_ci_u32_e32 v5, vcc_lo, 0, v5, vcc_lo
	v_cmp_ne_u32_e32 vcc_lo, v19, v20
	v_cvt_f64_f32_e32 v[12:13], v12
	v_add_nc_u32_e32 v16, 0xfffffc10, v16
	v_mul_f16_sdwa v9, v29, v9 dst_sel:DWORD dst_unused:UNUSED_PAD src0_sel:WORD_1 src1_sel:DWORD
	v_cndmask_b32_e64 v19, 0, 1, vcc_lo
	v_cmp_ne_u32_e32 vcc_lo, 0, v0
	v_lshl_or_b32 v20, v16, 12, v15
	v_fma_f16 v8, v29, v8, -v9
	v_or_b32_e32 v19, v24, v19
	v_cndmask_b32_e64 v0, 0, 1, vcc_lo
	v_cmp_gt_i32_e32 vcc_lo, 31, v17
	v_cvt_f32_f16_e32 v8, v8
	v_lshl_or_b32 v0, v0, 9, 0x7c00
	v_cndmask_b32_e32 v5, 0x7c00, v5, vcc_lo
	v_cmp_gt_i32_e32 vcc_lo, 1, v16
	v_and_or_b32 v10, 0x1ff, v11, v10
	v_cndmask_b32_e32 v19, v20, v19, vcc_lo
	v_cmp_eq_u32_e32 vcc_lo, 0x40f, v17
	v_lshrrev_b32_e32 v17, 16, v1
	v_and_b32_e32 v20, 7, v19
	v_cndmask_b32_e32 v5, v5, v0, vcc_lo
	v_cvt_f64_f32_e32 v[0:1], v8
	v_mul_f64 v[8:9], v[12:13], s[2:3]
	v_cmp_ne_u32_e32 vcc_lo, 0, v10
	v_lshrrev_b32_e32 v12, 8, v11
	v_and_or_b32 v5, 0x8000, v17, v5
	v_and_b32_e32 v17, 0xffff, v23
	v_bfe_u32 v13, v11, 20, 11
	v_cndmask_b32_e64 v10, 0, 1, vcc_lo
	v_cmp_lt_i32_e32 vcc_lo, 5, v20
	v_cmp_eq_u32_e64 s0, 3, v20
	v_lshl_or_b32 v17, v5, 16, v17
	v_lshrrev_b32_e32 v5, 2, v19
	v_and_or_b32 v10, 0xffe, v12, v10
	v_sub_nc_u32_e32 v12, 0x3f1, v13
	s_or_b32 vcc_lo, s0, vcc_lo
	v_add_nc_u32_e32 v13, 0xfffffc10, v13
	v_add_co_ci_u32_e32 v5, vcc_lo, 0, v5, vcc_lo
	v_or_b32_e32 v19, 0x1000, v10
	v_med3_i32 v12, v12, 0, 13
	v_cmp_ne_u32_e32 vcc_lo, 0, v15
	v_lshrrev_b32_e32 v11, 16, v11
	v_mul_f64 v[0:1], v[0:1], s[2:3]
	v_and_or_b32 v8, 0x1ff, v9, v8
	v_lshrrev_b32_e32 v20, v12, v19
	v_cndmask_b32_e64 v15, 0, 1, vcc_lo
	v_cmp_gt_i32_e32 vcc_lo, 31, v16
	v_lshrrev_b32_e32 v21, 8, v9
	v_bfe_u32 v22, v9, 20, 11
	v_lshlrev_b32_e32 v12, v12, v20
	v_lshl_or_b32 v15, v15, 9, 0x7c00
	v_cndmask_b32_e32 v5, 0x7c00, v5, vcc_lo
	v_cmp_ne_u32_e32 vcc_lo, 0, v8
	v_lshrrev_b32_e32 v9, 16, v9
	v_cndmask_b32_e64 v8, 0, 1, vcc_lo
	v_cmp_ne_u32_e32 vcc_lo, v12, v19
	v_sub_nc_u32_e32 v19, 0x3f1, v22
	v_and_or_b32 v8, 0xffe, v21, v8
	v_cndmask_b32_e64 v12, 0, 1, vcc_lo
	v_cmp_eq_u32_e32 vcc_lo, 0x40f, v16
	v_med3_i32 v19, v19, 0, 13
	v_and_or_b32 v0, 0x1ff, v1, v0
	v_or_b32_e32 v16, 0x1000, v8
	v_or_b32_e32 v12, v20, v12
	v_cndmask_b32_e32 v5, v5, v15, vcc_lo
	v_lshl_or_b32 v15, v13, 12, v10
	v_cmp_gt_i32_e32 vcc_lo, 1, v13
	v_lshrrev_b32_e32 v20, 8, v1
	v_bfe_u32 v21, v1, 20, 11
	v_and_or_b32 v4, 0x8000, v4, v5
	v_cndmask_b32_e32 v12, v15, v12, vcc_lo
	v_lshrrev_b32_e32 v15, v19, v16
	v_cmp_ne_u32_e32 vcc_lo, 0, v0
	v_sub_nc_u32_e32 v5, 0x3f1, v21
	v_and_b32_e32 v4, 0xffff, v4
	v_and_b32_e32 v23, 7, v12
	v_lshlrev_b32_e32 v19, v19, v15
	v_cndmask_b32_e64 v0, 0, 1, vcc_lo
	v_lshrrev_b32_e32 v12, 2, v12
	v_med3_i32 v5, v5, 0, 13
	v_cmp_lt_i32_e32 vcc_lo, 5, v23
	v_cmp_ne_u32_e64 s0, v19, v16
	v_and_or_b32 v0, 0xffe, v20, v0
	v_add_nc_u32_e32 v20, 0xfffffc10, v22
	v_cndmask_b32_e64 v16, 0, 1, s0
	v_cmp_eq_u32_e64 s0, 3, v23
	v_or_b32_e32 v19, 0x1000, v0
	v_lshl_or_b32 v22, v20, 12, v8
	v_or_b32_e32 v15, v15, v16
	s_or_b32 vcc_lo, s0, vcc_lo
	v_lshrrev_b32_e32 v16, v5, v19
	v_add_co_ci_u32_e32 v12, vcc_lo, 0, v12, vcc_lo
	v_cmp_gt_i32_e32 vcc_lo, 1, v20
	v_lshlrev_b32_e32 v5, v5, v16
	v_cndmask_b32_e32 v15, v22, v15, vcc_lo
	v_cmp_ne_u32_e32 vcc_lo, 0, v10
	v_cndmask_b32_e64 v10, 0, 1, vcc_lo
	v_cmp_ne_u32_e32 vcc_lo, v5, v19
	v_add_nc_u32_e32 v19, 0xfffffc10, v21
	v_and_b32_e32 v21, 7, v15
	v_lshl_or_b32 v10, v10, 9, 0x7c00
	v_cndmask_b32_e64 v5, 0, 1, vcc_lo
	v_cmp_gt_i32_e32 vcc_lo, 31, v13
	v_cmp_gt_i32_e64 s1, 1, v19
	v_cmp_eq_u32_e64 s0, 3, v21
	v_or_b32_e32 v5, v16, v5
	v_lshl_or_b32 v16, v19, 12, v0
	v_cndmask_b32_e32 v12, 0x7c00, v12, vcc_lo
	v_cmp_lt_i32_e32 vcc_lo, 5, v21
	v_cndmask_b32_e64 v5, v16, v5, s1
	v_cmp_eq_u32_e64 s1, 0x40f, v13
	s_or_b32 vcc_lo, s0, vcc_lo
	v_and_b32_e32 v13, 7, v5
	v_cndmask_b32_e64 v10, v12, v10, s1
	v_lshrrev_b32_e32 v12, 2, v15
	v_lshrrev_b32_e32 v5, 2, v5
	v_cmp_gt_i32_e64 s1, 31, v20
	v_cmp_eq_u32_e64 s0, 3, v13
	v_and_or_b32 v10, 0x8000, v11, v10
	v_add_co_ci_u32_e32 v12, vcc_lo, 0, v12, vcc_lo
	v_cmp_ne_u32_e32 vcc_lo, 0, v8
	v_lshl_or_b32 v10, v10, 16, v4
	v_cndmask_b32_e64 v12, 0x7c00, v12, s1
	v_cndmask_b32_e64 v8, 0, 1, vcc_lo
	v_cmp_lt_i32_e32 vcc_lo, 5, v13
	v_lshl_or_b32 v8, v8, 9, 0x7c00
	s_or_b32 vcc_lo, s0, vcc_lo
	v_add_co_ci_u32_e32 v5, vcc_lo, 0, v5, vcc_lo
	v_cmp_ne_u32_e32 vcc_lo, 0, v0
	v_cndmask_b32_e64 v0, 0, 1, vcc_lo
	v_cmp_eq_u32_e32 vcc_lo, 0x40f, v20
	v_lshl_or_b32 v0, v0, 9, 0x7c00
	v_cndmask_b32_e32 v8, v12, v8, vcc_lo
	v_cmp_gt_i32_e32 vcc_lo, 31, v19
	v_and_or_b32 v8, 0x8000, v9, v8
	v_cndmask_b32_e32 v5, 0x7c00, v5, vcc_lo
	v_cmp_eq_u32_e32 vcc_lo, 0x40f, v19
	v_lshrrev_b32_e32 v9, 16, v1
	v_and_b32_e32 v8, 0xffff, v8
	v_cndmask_b32_e32 v5, v5, v0, vcc_lo
	v_add_co_u32 v0, vcc_lo, v2, s5
	v_add_co_ci_u32_e32 v1, vcc_lo, s4, v3, vcc_lo
	v_and_or_b32 v9, 0x8000, v9, v5
	v_add_co_u32 v4, vcc_lo, v0, s5
	v_add_co_ci_u32_e32 v5, vcc_lo, s4, v1, vcc_lo
	v_lshl_or_b32 v11, v9, 16, v8
	v_add_co_u32 v8, vcc_lo, v4, s5
	v_add_co_ci_u32_e32 v9, vcc_lo, s4, v5, vcc_lo
	global_store_dword v[6:7], v14, off
	global_store_dword v[2:3], v18, off
	;; [unrolled: 1-line block ×5, first 2 shown]
.LBB0_10:
	s_endpgm
	.section	.rodata,"a",@progbits
	.p2align	6, 0x0
	.amdhsa_kernel bluestein_single_back_len600_dim1_half_op_CI_CI
		.amdhsa_group_segment_fixed_size 2400
		.amdhsa_private_segment_fixed_size 0
		.amdhsa_kernarg_size 104
		.amdhsa_user_sgpr_count 6
		.amdhsa_user_sgpr_private_segment_buffer 1
		.amdhsa_user_sgpr_dispatch_ptr 0
		.amdhsa_user_sgpr_queue_ptr 0
		.amdhsa_user_sgpr_kernarg_segment_ptr 1
		.amdhsa_user_sgpr_dispatch_id 0
		.amdhsa_user_sgpr_flat_scratch_init 0
		.amdhsa_user_sgpr_private_segment_size 0
		.amdhsa_wavefront_size32 1
		.amdhsa_uses_dynamic_stack 0
		.amdhsa_system_sgpr_private_segment_wavefront_offset 0
		.amdhsa_system_sgpr_workgroup_id_x 1
		.amdhsa_system_sgpr_workgroup_id_y 0
		.amdhsa_system_sgpr_workgroup_id_z 0
		.amdhsa_system_sgpr_workgroup_info 0
		.amdhsa_system_vgpr_workitem_id 0
		.amdhsa_next_free_vgpr 101
		.amdhsa_next_free_sgpr 20
		.amdhsa_reserve_vcc 1
		.amdhsa_reserve_flat_scratch 0
		.amdhsa_float_round_mode_32 0
		.amdhsa_float_round_mode_16_64 0
		.amdhsa_float_denorm_mode_32 3
		.amdhsa_float_denorm_mode_16_64 3
		.amdhsa_dx10_clamp 1
		.amdhsa_ieee_mode 1
		.amdhsa_fp16_overflow 0
		.amdhsa_workgroup_processor_mode 1
		.amdhsa_memory_ordered 1
		.amdhsa_forward_progress 0
		.amdhsa_shared_vgpr_count 0
		.amdhsa_exception_fp_ieee_invalid_op 0
		.amdhsa_exception_fp_denorm_src 0
		.amdhsa_exception_fp_ieee_div_zero 0
		.amdhsa_exception_fp_ieee_overflow 0
		.amdhsa_exception_fp_ieee_underflow 0
		.amdhsa_exception_fp_ieee_inexact 0
		.amdhsa_exception_int_div_zero 0
	.end_amdhsa_kernel
	.text
.Lfunc_end0:
	.size	bluestein_single_back_len600_dim1_half_op_CI_CI, .Lfunc_end0-bluestein_single_back_len600_dim1_half_op_CI_CI
                                        ; -- End function
	.section	.AMDGPU.csdata,"",@progbits
; Kernel info:
; codeLenInByte = 14732
; NumSgprs: 22
; NumVgprs: 101
; ScratchSize: 0
; MemoryBound: 0
; FloatMode: 240
; IeeeMode: 1
; LDSByteSize: 2400 bytes/workgroup (compile time only)
; SGPRBlocks: 2
; VGPRBlocks: 12
; NumSGPRsForWavesPerEU: 22
; NumVGPRsForWavesPerEU: 101
; Occupancy: 9
; WaveLimiterHint : 1
; COMPUTE_PGM_RSRC2:SCRATCH_EN: 0
; COMPUTE_PGM_RSRC2:USER_SGPR: 6
; COMPUTE_PGM_RSRC2:TRAP_HANDLER: 0
; COMPUTE_PGM_RSRC2:TGID_X_EN: 1
; COMPUTE_PGM_RSRC2:TGID_Y_EN: 0
; COMPUTE_PGM_RSRC2:TGID_Z_EN: 0
; COMPUTE_PGM_RSRC2:TIDIG_COMP_CNT: 0
	.text
	.p2alignl 6, 3214868480
	.fill 48, 4, 3214868480
	.type	__hip_cuid_ba9db111d47a4020,@object ; @__hip_cuid_ba9db111d47a4020
	.section	.bss,"aw",@nobits
	.globl	__hip_cuid_ba9db111d47a4020
__hip_cuid_ba9db111d47a4020:
	.byte	0                               ; 0x0
	.size	__hip_cuid_ba9db111d47a4020, 1

	.ident	"AMD clang version 19.0.0git (https://github.com/RadeonOpenCompute/llvm-project roc-6.4.0 25133 c7fe45cf4b819c5991fe208aaa96edf142730f1d)"
	.section	".note.GNU-stack","",@progbits
	.addrsig
	.addrsig_sym __hip_cuid_ba9db111d47a4020
	.amdgpu_metadata
---
amdhsa.kernels:
  - .args:
      - .actual_access:  read_only
        .address_space:  global
        .offset:         0
        .size:           8
        .value_kind:     global_buffer
      - .actual_access:  read_only
        .address_space:  global
        .offset:         8
        .size:           8
        .value_kind:     global_buffer
      - .actual_access:  read_only
        .address_space:  global
        .offset:         16
        .size:           8
        .value_kind:     global_buffer
      - .actual_access:  read_only
        .address_space:  global
        .offset:         24
        .size:           8
        .value_kind:     global_buffer
      - .actual_access:  read_only
        .address_space:  global
        .offset:         32
        .size:           8
        .value_kind:     global_buffer
      - .offset:         40
        .size:           8
        .value_kind:     by_value
      - .address_space:  global
        .offset:         48
        .size:           8
        .value_kind:     global_buffer
      - .address_space:  global
        .offset:         56
        .size:           8
        .value_kind:     global_buffer
      - .address_space:  global
        .offset:         64
        .size:           8
        .value_kind:     global_buffer
      - .address_space:  global
        .offset:         72
        .size:           8
        .value_kind:     global_buffer
      - .offset:         80
        .size:           4
        .value_kind:     by_value
      - .address_space:  global
        .offset:         88
        .size:           8
        .value_kind:     global_buffer
      - .address_space:  global
        .offset:         96
        .size:           8
        .value_kind:     global_buffer
    .group_segment_fixed_size: 2400
    .kernarg_segment_align: 8
    .kernarg_segment_size: 104
    .language:       OpenCL C
    .language_version:
      - 2
      - 0
    .max_flat_workgroup_size: 60
    .name:           bluestein_single_back_len600_dim1_half_op_CI_CI
    .private_segment_fixed_size: 0
    .sgpr_count:     22
    .sgpr_spill_count: 0
    .symbol:         bluestein_single_back_len600_dim1_half_op_CI_CI.kd
    .uniform_work_group_size: 1
    .uses_dynamic_stack: false
    .vgpr_count:     101
    .vgpr_spill_count: 0
    .wavefront_size: 32
    .workgroup_processor_mode: 1
amdhsa.target:   amdgcn-amd-amdhsa--gfx1030
amdhsa.version:
  - 1
  - 2
...

	.end_amdgpu_metadata
